;; amdgpu-corpus repo=ROCm/rocFFT kind=compiled arch=gfx906 opt=O3
	.text
	.amdgcn_target "amdgcn-amd-amdhsa--gfx906"
	.amdhsa_code_object_version 6
	.protected	fft_rtc_back_len1680_factors_2_2_2_2_3_7_5_wgs_112_tpt_112_halfLds_half_ip_CI_unitstride_sbrr_R2C_dirReg ; -- Begin function fft_rtc_back_len1680_factors_2_2_2_2_3_7_5_wgs_112_tpt_112_halfLds_half_ip_CI_unitstride_sbrr_R2C_dirReg
	.globl	fft_rtc_back_len1680_factors_2_2_2_2_3_7_5_wgs_112_tpt_112_halfLds_half_ip_CI_unitstride_sbrr_R2C_dirReg
	.p2align	8
	.type	fft_rtc_back_len1680_factors_2_2_2_2_3_7_5_wgs_112_tpt_112_halfLds_half_ip_CI_unitstride_sbrr_R2C_dirReg,@function
fft_rtc_back_len1680_factors_2_2_2_2_3_7_5_wgs_112_tpt_112_halfLds_half_ip_CI_unitstride_sbrr_R2C_dirReg: ; @fft_rtc_back_len1680_factors_2_2_2_2_3_7_5_wgs_112_tpt_112_halfLds_half_ip_CI_unitstride_sbrr_R2C_dirReg
; %bb.0:
	s_load_dwordx2 s[12:13], s[4:5], 0x50
	s_load_dwordx4 s[8:11], s[4:5], 0x0
	s_load_dwordx2 s[2:3], s[4:5], 0x18
	v_mul_u32_u24_e32 v1, 0x24a, v0
	v_add_u32_sdwa v5, s6, v1 dst_sel:DWORD dst_unused:UNUSED_PAD src0_sel:DWORD src1_sel:WORD_1
	v_mov_b32_e32 v3, 0
	s_waitcnt lgkmcnt(0)
	v_cmp_lt_u64_e64 s[0:1], s[10:11], 2
	v_mov_b32_e32 v1, 0
	v_mov_b32_e32 v6, v3
	s_and_b64 vcc, exec, s[0:1]
	v_mov_b32_e32 v2, 0
	s_cbranch_vccnz .LBB0_8
; %bb.1:
	s_load_dwordx2 s[0:1], s[4:5], 0x10
	s_add_u32 s6, s2, 8
	s_addc_u32 s7, s3, 0
	v_mov_b32_e32 v1, 0
	v_mov_b32_e32 v2, 0
	s_waitcnt lgkmcnt(0)
	s_add_u32 s14, s0, 8
	s_addc_u32 s15, s1, 0
	s_mov_b64 s[16:17], 1
.LBB0_2:                                ; =>This Inner Loop Header: Depth=1
	s_load_dwordx2 s[18:19], s[14:15], 0x0
                                        ; implicit-def: $vgpr7_vgpr8
	s_waitcnt lgkmcnt(0)
	v_or_b32_e32 v4, s19, v6
	v_cmp_ne_u64_e32 vcc, 0, v[3:4]
	s_and_saveexec_b64 s[0:1], vcc
	s_xor_b64 s[20:21], exec, s[0:1]
	s_cbranch_execz .LBB0_4
; %bb.3:                                ;   in Loop: Header=BB0_2 Depth=1
	v_cvt_f32_u32_e32 v4, s18
	v_cvt_f32_u32_e32 v7, s19
	s_sub_u32 s0, 0, s18
	s_subb_u32 s1, 0, s19
	v_mac_f32_e32 v4, 0x4f800000, v7
	v_rcp_f32_e32 v4, v4
	v_mul_f32_e32 v4, 0x5f7ffffc, v4
	v_mul_f32_e32 v7, 0x2f800000, v4
	v_trunc_f32_e32 v7, v7
	v_mac_f32_e32 v4, 0xcf800000, v7
	v_cvt_u32_f32_e32 v7, v7
	v_cvt_u32_f32_e32 v4, v4
	v_mul_lo_u32 v8, s0, v7
	v_mul_hi_u32 v9, s0, v4
	v_mul_lo_u32 v11, s1, v4
	v_mul_lo_u32 v10, s0, v4
	v_add_u32_e32 v8, v9, v8
	v_add_u32_e32 v8, v8, v11
	v_mul_hi_u32 v9, v4, v10
	v_mul_lo_u32 v11, v4, v8
	v_mul_hi_u32 v13, v4, v8
	v_mul_hi_u32 v12, v7, v10
	v_mul_lo_u32 v10, v7, v10
	v_mul_hi_u32 v14, v7, v8
	v_add_co_u32_e32 v9, vcc, v9, v11
	v_addc_co_u32_e32 v11, vcc, 0, v13, vcc
	v_mul_lo_u32 v8, v7, v8
	v_add_co_u32_e32 v9, vcc, v9, v10
	v_addc_co_u32_e32 v9, vcc, v11, v12, vcc
	v_addc_co_u32_e32 v10, vcc, 0, v14, vcc
	v_add_co_u32_e32 v8, vcc, v9, v8
	v_addc_co_u32_e32 v9, vcc, 0, v10, vcc
	v_add_co_u32_e32 v4, vcc, v4, v8
	v_addc_co_u32_e32 v7, vcc, v7, v9, vcc
	v_mul_lo_u32 v8, s0, v7
	v_mul_hi_u32 v9, s0, v4
	v_mul_lo_u32 v10, s1, v4
	v_mul_lo_u32 v11, s0, v4
	v_add_u32_e32 v8, v9, v8
	v_add_u32_e32 v8, v8, v10
	v_mul_lo_u32 v12, v4, v8
	v_mul_hi_u32 v13, v4, v11
	v_mul_hi_u32 v14, v4, v8
	;; [unrolled: 1-line block ×3, first 2 shown]
	v_mul_lo_u32 v11, v7, v11
	v_mul_hi_u32 v9, v7, v8
	v_add_co_u32_e32 v12, vcc, v13, v12
	v_addc_co_u32_e32 v13, vcc, 0, v14, vcc
	v_mul_lo_u32 v8, v7, v8
	v_add_co_u32_e32 v11, vcc, v12, v11
	v_addc_co_u32_e32 v10, vcc, v13, v10, vcc
	v_addc_co_u32_e32 v9, vcc, 0, v9, vcc
	v_add_co_u32_e32 v8, vcc, v10, v8
	v_addc_co_u32_e32 v9, vcc, 0, v9, vcc
	v_add_co_u32_e32 v4, vcc, v4, v8
	v_addc_co_u32_e32 v9, vcc, v7, v9, vcc
	v_mad_u64_u32 v[7:8], s[0:1], v5, v9, 0
	v_mul_hi_u32 v10, v5, v4
	v_add_co_u32_e32 v11, vcc, v10, v7
	v_addc_co_u32_e32 v12, vcc, 0, v8, vcc
	v_mad_u64_u32 v[7:8], s[0:1], v6, v4, 0
	v_mad_u64_u32 v[9:10], s[0:1], v6, v9, 0
	v_add_co_u32_e32 v4, vcc, v11, v7
	v_addc_co_u32_e32 v4, vcc, v12, v8, vcc
	v_addc_co_u32_e32 v7, vcc, 0, v10, vcc
	v_add_co_u32_e32 v4, vcc, v4, v9
	v_addc_co_u32_e32 v9, vcc, 0, v7, vcc
	v_mul_lo_u32 v10, s19, v4
	v_mul_lo_u32 v11, s18, v9
	v_mad_u64_u32 v[7:8], s[0:1], s18, v4, 0
	v_add3_u32 v8, v8, v11, v10
	v_sub_u32_e32 v10, v6, v8
	v_mov_b32_e32 v11, s19
	v_sub_co_u32_e32 v7, vcc, v5, v7
	v_subb_co_u32_e64 v10, s[0:1], v10, v11, vcc
	v_subrev_co_u32_e64 v11, s[0:1], s18, v7
	v_subbrev_co_u32_e64 v10, s[0:1], 0, v10, s[0:1]
	v_cmp_le_u32_e64 s[0:1], s19, v10
	v_cndmask_b32_e64 v12, 0, -1, s[0:1]
	v_cmp_le_u32_e64 s[0:1], s18, v11
	v_cndmask_b32_e64 v11, 0, -1, s[0:1]
	v_cmp_eq_u32_e64 s[0:1], s19, v10
	v_cndmask_b32_e64 v10, v12, v11, s[0:1]
	v_add_co_u32_e64 v11, s[0:1], 2, v4
	v_addc_co_u32_e64 v12, s[0:1], 0, v9, s[0:1]
	v_add_co_u32_e64 v13, s[0:1], 1, v4
	v_addc_co_u32_e64 v14, s[0:1], 0, v9, s[0:1]
	v_subb_co_u32_e32 v8, vcc, v6, v8, vcc
	v_cmp_ne_u32_e64 s[0:1], 0, v10
	v_cmp_le_u32_e32 vcc, s19, v8
	v_cndmask_b32_e64 v10, v14, v12, s[0:1]
	v_cndmask_b32_e64 v12, 0, -1, vcc
	v_cmp_le_u32_e32 vcc, s18, v7
	v_cndmask_b32_e64 v7, 0, -1, vcc
	v_cmp_eq_u32_e32 vcc, s19, v8
	v_cndmask_b32_e32 v7, v12, v7, vcc
	v_cmp_ne_u32_e32 vcc, 0, v7
	v_cndmask_b32_e64 v7, v13, v11, s[0:1]
	v_cndmask_b32_e32 v8, v9, v10, vcc
	v_cndmask_b32_e32 v7, v4, v7, vcc
.LBB0_4:                                ;   in Loop: Header=BB0_2 Depth=1
	s_andn2_saveexec_b64 s[0:1], s[20:21]
	s_cbranch_execz .LBB0_6
; %bb.5:                                ;   in Loop: Header=BB0_2 Depth=1
	v_cvt_f32_u32_e32 v4, s18
	s_sub_i32 s20, 0, s18
	v_rcp_iflag_f32_e32 v4, v4
	v_mul_f32_e32 v4, 0x4f7ffffe, v4
	v_cvt_u32_f32_e32 v4, v4
	v_mul_lo_u32 v7, s20, v4
	v_mul_hi_u32 v7, v4, v7
	v_add_u32_e32 v4, v4, v7
	v_mul_hi_u32 v4, v5, v4
	v_mul_lo_u32 v7, v4, s18
	v_add_u32_e32 v8, 1, v4
	v_sub_u32_e32 v7, v5, v7
	v_subrev_u32_e32 v9, s18, v7
	v_cmp_le_u32_e32 vcc, s18, v7
	v_cndmask_b32_e32 v7, v7, v9, vcc
	v_cndmask_b32_e32 v4, v4, v8, vcc
	v_add_u32_e32 v8, 1, v4
	v_cmp_le_u32_e32 vcc, s18, v7
	v_cndmask_b32_e32 v7, v4, v8, vcc
	v_mov_b32_e32 v8, v3
.LBB0_6:                                ;   in Loop: Header=BB0_2 Depth=1
	s_or_b64 exec, exec, s[0:1]
	v_mul_lo_u32 v4, v8, s18
	v_mul_lo_u32 v11, v7, s19
	v_mad_u64_u32 v[9:10], s[0:1], v7, s18, 0
	s_load_dwordx2 s[0:1], s[6:7], 0x0
	s_add_u32 s16, s16, 1
	v_add3_u32 v4, v10, v11, v4
	v_sub_co_u32_e32 v5, vcc, v5, v9
	v_subb_co_u32_e32 v4, vcc, v6, v4, vcc
	s_waitcnt lgkmcnt(0)
	v_mul_lo_u32 v4, s0, v4
	v_mul_lo_u32 v6, s1, v5
	v_mad_u64_u32 v[1:2], s[0:1], s0, v5, v[1:2]
	s_addc_u32 s17, s17, 0
	s_add_u32 s6, s6, 8
	v_add3_u32 v2, v6, v2, v4
	v_mov_b32_e32 v4, s10
	v_mov_b32_e32 v5, s11
	s_addc_u32 s7, s7, 0
	v_cmp_ge_u64_e32 vcc, s[16:17], v[4:5]
	s_add_u32 s14, s14, 8
	s_addc_u32 s15, s15, 0
	s_cbranch_vccnz .LBB0_9
; %bb.7:                                ;   in Loop: Header=BB0_2 Depth=1
	v_mov_b32_e32 v5, v7
	v_mov_b32_e32 v6, v8
	s_branch .LBB0_2
.LBB0_8:
	v_mov_b32_e32 v8, v6
	v_mov_b32_e32 v7, v5
.LBB0_9:
	s_lshl_b64 s[0:1], s[10:11], 3
	s_add_u32 s0, s2, s0
	s_addc_u32 s1, s3, s1
	s_load_dwordx2 s[2:3], s[0:1], 0x0
	s_load_dwordx2 s[6:7], s[4:5], 0x20
                                        ; implicit-def: $vgpr13
                                        ; implicit-def: $vgpr10
                                        ; implicit-def: $vgpr9
                                        ; implicit-def: $vgpr12
                                        ; implicit-def: $vgpr6
	s_waitcnt lgkmcnt(0)
	v_mad_u64_u32 v[1:2], s[0:1], s2, v7, v[1:2]
	s_mov_b32 s0, 0x2492493
	v_mul_lo_u32 v3, s2, v8
	v_mul_lo_u32 v4, s3, v7
	v_mul_hi_u32 v5, v0, s0
	v_cmp_gt_u64_e64 s[0:1], s[6:7], v[7:8]
	v_cmp_le_u64_e32 vcc, s[6:7], v[7:8]
	v_add3_u32 v2, v4, v2, v3
	v_mul_u32_u24_e32 v3, 0x70, v5
	v_sub_u32_e32 v0, v0, v3
                                        ; implicit-def: $vgpr4
                                        ; implicit-def: $vgpr7
	s_and_saveexec_b64 s[2:3], vcc
	s_xor_b64 s[2:3], exec, s[2:3]
; %bb.10:
	v_add_u32_e32 v4, 0x70, v0
	v_add_u32_e32 v13, 0xe0, v0
	;; [unrolled: 1-line block ×7, first 2 shown]
; %bb.11:
	s_or_saveexec_b64 s[2:3], s[2:3]
	v_lshlrev_b64 v[2:3], 2, v[1:2]
	s_xor_b64 exec, exec, s[2:3]
	s_cbranch_execz .LBB0_13
; %bb.12:
	v_mov_b32_e32 v1, 0
	v_mov_b32_e32 v4, s13
	v_add_co_u32_e32 v6, vcc, s12, v2
	v_addc_co_u32_e32 v7, vcc, v4, v3, vcc
	v_lshlrev_b64 v[4:5], 2, v[0:1]
	v_add_u32_e32 v13, 0xe0, v0
	v_add_co_u32_e32 v4, vcc, v6, v4
	v_addc_co_u32_e32 v5, vcc, v7, v5, vcc
	v_add_co_u32_e32 v6, vcc, 0x1000, v4
	global_load_dword v1, v[4:5], off
	global_load_dword v8, v[4:5], off offset:448
	global_load_dword v11, v[4:5], off offset:896
	;; [unrolled: 1-line block ×7, first 2 shown]
	v_addc_co_u32_e32 v7, vcc, 0, v5, vcc
	global_load_dword v19, v[4:5], off offset:3584
	global_load_dword v20, v[4:5], off offset:4032
	;; [unrolled: 1-line block ×7, first 2 shown]
	v_lshl_add_u32 v5, v0, 2, 0
	v_add_u32_e32 v4, 0x70, v0
	v_add_u32_e32 v10, 0x150, v0
	;; [unrolled: 1-line block ×12, first 2 shown]
	s_waitcnt vmcnt(11)
	ds_write2_b32 v26, v11, v14 offset0:96 offset1:208
	s_waitcnt vmcnt(9)
	ds_write2_b32 v27, v15, v16 offset0:64 offset1:176
	;; [unrolled: 2-line block ×4, first 2 shown]
	ds_write2_b32 v5, v1, v8 offset1:112
	s_waitcnt vmcnt(3)
	ds_write2_b32 v30, v21, v22 offset0:96 offset1:208
	s_waitcnt vmcnt(1)
	ds_write2_b32 v31, v23, v24 offset0:64 offset1:176
	s_waitcnt vmcnt(0)
	ds_write_b32 v5, v25 offset:6272
.LBB0_13:
	s_or_b64 exec, exec, s[2:3]
	v_lshlrev_b32_e32 v14, 2, v0
	v_add_u32_e32 v36, 0, v14
	v_add_u32_e32 v1, 0xa00, v36
	s_waitcnt lgkmcnt(0)
	s_barrier
	ds_read2_b32 v[16:17], v1 offset0:32 offset1:144
	v_add_u32_e32 v1, 0x1600, v36
	ds_read2_b32 v[20:21], v1 offset0:104 offset1:216
	v_add_u32_e32 v1, 0x600, v36
	;; [unrolled: 2-line block ×3, first 2 shown]
	v_add_u32_e32 v1, 0x200, v36
	ds_read2_b32 v[24:25], v1 offset0:96 offset1:208
	v_add_u32_e32 v18, 0x1000, v36
	v_add_u32_e32 v19, 0xc00, v36
	ds_read2_b32 v[31:32], v15 offset0:8 offset1:120
	ds_read2_b32 v[29:30], v18 offset0:40 offset1:152
	ds_read2_b32 v[26:27], v36 offset1:112
	ds_read2_b32 v[33:34], v19 offset0:72 offset1:184
	v_add_u32_e32 v1, v36, v14
	s_waitcnt lgkmcnt(0)
	s_barrier
	v_pk_add_f16 v5, v26, v33 neg_lo:[0,1] neg_hi:[0,1]
	v_pk_fma_f16 v8, v26, 2.0, v5 op_sel_hi:[1,0,1] neg_lo:[0,0,1] neg_hi:[0,0,1]
	ds_write2_b32 v1, v8, v5 offset1:1
	v_pk_add_f16 v1, v27, v34 neg_lo:[0,1] neg_hi:[0,1]
	v_pk_fma_f16 v5, v27, 2.0, v1 op_sel_hi:[1,0,1] neg_lo:[0,0,1] neg_hi:[0,0,1]
	v_lshl_add_u32 v27, v4, 3, 0
	ds_write2_b32 v27, v5, v1 offset1:1
	v_pk_add_f16 v1, v24, v29 neg_lo:[0,1] neg_hi:[0,1]
	v_lshl_add_u32 v28, v13, 3, 0
	v_pk_fma_f16 v5, v24, 2.0, v1 op_sel_hi:[1,0,1] neg_lo:[0,0,1] neg_hi:[0,0,1]
	ds_write2_b32 v28, v5, v1 offset1:1
	v_pk_add_f16 v1, v25, v30 neg_lo:[0,1] neg_hi:[0,1]
	v_pk_fma_f16 v5, v25, 2.0, v1 op_sel_hi:[1,0,1] neg_lo:[0,0,1] neg_hi:[0,0,1]
	v_lshl_add_u32 v29, v10, 3, 0
	ds_write2_b32 v29, v5, v1 offset1:1
	v_pk_add_f16 v1, v22, v31 neg_lo:[0,1] neg_hi:[0,1]
	v_lshl_add_u32 v30, v7, 3, 0
	v_pk_fma_f16 v5, v22, 2.0, v1 op_sel_hi:[1,0,1] neg_lo:[0,0,1] neg_hi:[0,0,1]
	ds_write2_b32 v30, v5, v1 offset1:1
	v_pk_add_f16 v1, v23, v32 neg_lo:[0,1] neg_hi:[0,1]
	v_pk_fma_f16 v5, v23, 2.0, v1 op_sel_hi:[1,0,1] neg_lo:[0,0,1] neg_hi:[0,0,1]
	v_lshl_add_u32 v31, v9, 3, 0
	ds_write2_b32 v31, v5, v1 offset1:1
	v_pk_add_f16 v1, v16, v20 neg_lo:[0,1] neg_hi:[0,1]
	v_pk_add_f16 v33, v17, v21 neg_lo:[0,1] neg_hi:[0,1]
	v_lshl_add_u32 v32, v12, 3, 0
	v_pk_fma_f16 v5, v16, 2.0, v1 op_sel_hi:[1,0,1] neg_lo:[0,0,1] neg_hi:[0,0,1]
	v_pk_fma_f16 v26, v17, 2.0, v33 op_sel_hi:[1,0,1] neg_lo:[0,0,1] neg_hi:[0,0,1]
	v_cmp_gt_u32_e32 vcc, 56, v0
	ds_write2_b32 v32, v5, v1 offset1:1
	s_and_saveexec_b64 s[2:3], vcc
	s_cbranch_execz .LBB0_15
; %bb.14:
	v_lshl_add_u32 v1, v6, 3, 0
	ds_write2_b32 v1, v26, v33 offset1:1
.LBB0_15:
	s_or_b64 exec, exec, s[2:3]
	v_lshlrev_b32_e32 v47, 2, v10
	v_lshlrev_b32_e32 v16, 2, v13
	v_sub_u32_e32 v1, v29, v47
	v_lshlrev_b32_e32 v48, 2, v7
	v_lshlrev_b32_e32 v49, 2, v9
	;; [unrolled: 1-line block ×4, first 2 shown]
	s_waitcnt lgkmcnt(0)
	s_barrier
	v_sub_u32_e32 v24, v28, v16
	v_sub_u32_e32 v5, v30, v48
	;; [unrolled: 1-line block ×4, first 2 shown]
	ds_read_b32 v35, v1
	ds_read_b32 v38, v5
	;; [unrolled: 1-line block ×4, first 2 shown]
	v_sub_u32_e32 v25, v27, v17
	ds_read_b32 v40, v36
	ds_read2_b32 v[22:23], v19 offset0:72 offset1:184
	ds_read2_b32 v[20:21], v18 offset0:40 offset1:152
	ds_read2_b32 v[18:19], v15 offset0:8 offset1:120
	ds_read_b32 v41, v24
	ds_read_b32 v42, v25
	ds_read_b32 v44, v36 offset:6048
	v_lshlrev_b32_e32 v1, 1, v4
	v_lshlrev_b32_e32 v5, 1, v13
	;; [unrolled: 1-line block ×6, first 2 shown]
	v_lshrrev_b32_e32 v46, 16, v33
	v_lshl_add_u32 v37, v6, 2, 0
	s_and_saveexec_b64 s[2:3], vcc
	s_cbranch_execz .LBB0_17
; %bb.16:
	ds_read_b32 v33, v36 offset:6496
	ds_read_b32 v26, v37
	s_waitcnt lgkmcnt(1)
	v_lshrrev_b32_e32 v46, 16, v33
.LBB0_17:
	s_or_b64 exec, exec, s[2:3]
	v_and_b32_e32 v43, 1, v0
	v_lshlrev_b32_e32 v25, 2, v43
	global_load_dword v55, v25, s[8:9]
	v_lshlrev_b32_e32 v25, 1, v0
	s_movk_i32 s2, 0xfc
	v_sub_u32_e32 v52, 0, v48
	s_movk_i32 s4, 0x1fc
	v_and_or_b32 v48, v25, s2, v43
	v_sub_u32_e32 v51, 0, v49
	v_and_or_b32 v49, v1, s4, v43
	v_lshl_add_u32 v61, v48, 2, 0
	s_mov_b32 s3, 0xffff
	v_lshl_add_u32 v62, v49, 2, 0
	v_sub_u32_e32 v53, 0, v47
	s_waitcnt lgkmcnt(0)
	v_lshrrev_b32_e32 v47, 16, v26
	s_movk_i32 s5, 0x3fc
	s_movk_i32 s6, 0x7fc
	;; [unrolled: 1-line block ×3, first 2 shown]
	v_and_or_b32 v56, v5, s5, v43
	v_and_or_b32 v57, v8, s5, v43
	;; [unrolled: 1-line block ×4, first 2 shown]
	v_sub_u32_e32 v45, 0, v17
	v_sub_u32_e32 v54, 0, v16
	;; [unrolled: 1-line block ×3, first 2 shown]
	v_and_or_b32 v60, v24, s6, v43
	s_waitcnt vmcnt(0)
	s_barrier
	v_lshl_add_u32 v56, v56, 2, 0
	v_lshl_add_u32 v57, v57, 2, 0
	;; [unrolled: 1-line block ×5, first 2 shown]
	v_pk_mul_f16 v48, v55, v22 op_sel:[0,1]
	v_pk_mul_f16 v49, v55, v23 op_sel:[0,1]
	;; [unrolled: 1-line block ×7, first 2 shown]
	v_mul_f16_sdwa v68, v46, v55 dst_sel:DWORD dst_unused:UNUSED_PAD src0_sel:DWORD src1_sel:WORD_1
	v_pk_fma_f16 v70, v55, v22, v48 op_sel:[0,0,1] op_sel_hi:[1,1,0]
	v_pk_fma_f16 v22, v55, v22, v48 op_sel:[0,0,1] op_sel_hi:[1,0,0] neg_lo:[1,0,0] neg_hi:[1,0,0]
	v_mul_f16_sdwa v69, v33, v55 dst_sel:DWORD dst_unused:UNUSED_PAD src0_sel:DWORD src1_sel:WORD_1
	v_pk_fma_f16 v48, v55, v23, v49 op_sel:[0,0,1] op_sel_hi:[1,1,0]
	v_pk_fma_f16 v23, v55, v23, v49 op_sel:[0,0,1] op_sel_hi:[1,0,0] neg_lo:[1,0,0] neg_hi:[1,0,0]
	v_pk_fma_f16 v49, v55, v20, v63 op_sel:[0,0,1] op_sel_hi:[1,1,0]
	v_pk_fma_f16 v20, v55, v20, v63 op_sel:[0,0,1] op_sel_hi:[1,0,0] neg_lo:[1,0,0] neg_hi:[1,0,0]
	;; [unrolled: 2-line block ×6, first 2 shown]
	v_fma_f16 v33, v33, v55, v68
	v_bfi_b32 v22, s3, v70, v22
	v_fma_f16 v46, v46, v55, -v69
	v_bfi_b32 v44, s3, v66, v44
	v_bfi_b32 v23, s3, v48, v23
	;; [unrolled: 1-line block ×6, first 2 shown]
	v_sub_f16_e32 v48, v26, v33
	v_pk_add_f16 v22, v40, v22 neg_lo:[0,1] neg_hi:[0,1]
	v_sub_f16_e32 v49, v47, v46
	v_pk_add_f16 v33, v39, v44 neg_lo:[0,1] neg_hi:[0,1]
	v_fma_f16 v44, v26, 2.0, -v48
	v_pk_add_f16 v23, v42, v23 neg_lo:[0,1] neg_hi:[0,1]
	v_pk_add_f16 v20, v41, v20 neg_lo:[0,1] neg_hi:[0,1]
	;; [unrolled: 1-line block ×5, first 2 shown]
	v_pk_fma_f16 v26, v40, 2.0, v22 op_sel_hi:[1,0,1] neg_lo:[0,0,1] neg_hi:[0,0,1]
	v_fma_f16 v47, v47, 2.0, -v49
	v_pk_fma_f16 v40, v42, 2.0, v23 op_sel_hi:[1,0,1] neg_lo:[0,0,1] neg_hi:[0,0,1]
	v_pk_fma_f16 v41, v41, 2.0, v20 op_sel_hi:[1,0,1] neg_lo:[0,0,1] neg_hi:[0,0,1]
	;; [unrolled: 1-line block ×4, first 2 shown]
	ds_write2_b32 v61, v26, v22 offset1:2
	ds_write2_b32 v62, v40, v23 offset1:2
	;; [unrolled: 1-line block ×5, first 2 shown]
	v_pk_fma_f16 v18, v34, 2.0, v19 op_sel_hi:[1,0,1] neg_lo:[0,0,1] neg_hi:[0,0,1]
	v_lshlrev_b32_e32 v26, 1, v6
	v_pk_fma_f16 v39, v39, 2.0, v33 op_sel_hi:[1,0,1] neg_lo:[0,0,1] neg_hi:[0,0,1]
	ds_write2_b32 v59, v18, v19 offset1:2
	ds_write2_b32 v60, v39, v33 offset1:2
	s_and_saveexec_b64 s[2:3], vcc
	s_cbranch_execz .LBB0_19
; %bb.18:
	s_movk_i32 s4, 0x6fc
	v_and_or_b32 v18, v26, s4, v43
	s_mov_b32 s4, 0x5040100
	v_lshl_add_u32 v18, v18, 2, 0
	v_perm_b32 v19, v47, v44, s4
	v_perm_b32 v20, v49, v48, s4
	ds_write2_b32 v18, v19, v20 offset1:2
.LBB0_19:
	s_or_b64 exec, exec, s[2:3]
	v_add_u32_e32 v18, 0xc00, v36
	s_waitcnt lgkmcnt(0)
	s_barrier
	ds_read2_b32 v[22:23], v18 offset0:72 offset1:184
	v_add_u32_e32 v18, 0x1000, v36
	v_add_u32_e32 v42, v28, v54
	ds_read2_b32 v[20:21], v18 offset0:40 offset1:152
	v_add_u32_e32 v18, 0x1400, v36
	ds_read_b32 v46, v36
	v_add_u32_e32 v43, v27, v45
	v_add_u32_e32 v41, v29, v53
	;; [unrolled: 1-line block ×3, first 2 shown]
	ds_read2_b32 v[18:19], v18 offset0:8 offset1:120
	v_add_u32_e32 v39, v31, v51
	v_add_u32_e32 v38, v32, v50
	ds_read_b32 v35, v42
	ds_read_b32 v34, v41
	;; [unrolled: 1-line block ×6, first 2 shown]
	ds_read_b32 v28, v36 offset:6048
	s_and_saveexec_b64 s[2:3], vcc
	s_cbranch_execz .LBB0_21
; %bb.20:
	ds_read_b32 v44, v37
	ds_read_b32 v48, v36 offset:6496
	s_waitcnt lgkmcnt(1)
	v_lshrrev_b32_e32 v47, 16, v44
	s_waitcnt lgkmcnt(0)
	v_lshrrev_b32_e32 v49, 16, v48
.LBB0_21:
	s_or_b64 exec, exec, s[2:3]
	v_and_b32_e32 v32, 3, v0
	v_lshlrev_b32_e32 v29, 2, v32
	global_load_dword v57, v29, s[8:9] offset:8
	s_movk_i32 s2, 0xf8
	v_and_or_b32 v30, v25, s2, v32
	s_movk_i32 s2, 0x1f8
	v_lshl_add_u32 v50, v30, 2, 0
	v_and_or_b32 v30, v1, s2, v32
	s_movk_i32 s2, 0x3f8
	v_lshl_add_u32 v51, v30, 2, 0
	v_and_or_b32 v30, v5, s2, v32
	v_lshl_add_u32 v52, v30, 2, 0
	v_and_or_b32 v30, v8, s2, v32
	s_movk_i32 s2, 0x7f8
	v_lshl_add_u32 v53, v30, 2, 0
	v_and_or_b32 v30, v11, s2, v32
	s_movk_i32 s3, 0x5f8
	v_lshl_add_u32 v54, v30, 2, 0
	v_and_or_b32 v30, v15, s3, v32
	v_lshl_add_u32 v55, v30, 2, 0
	v_and_or_b32 v30, v24, s2, v32
	v_lshl_add_u32 v56, v30, 2, 0
	s_mov_b32 s2, 0xffff
	s_waitcnt vmcnt(0) lgkmcnt(0)
	s_barrier
	v_pk_mul_f16 v29, v57, v28 op_sel:[0,1]
	v_pk_fma_f16 v30, v57, v28, v29 op_sel:[0,0,1] op_sel_hi:[1,1,0]
	v_pk_fma_f16 v28, v57, v28, v29 op_sel:[0,0,1] op_sel_hi:[1,0,0] neg_lo:[1,0,0] neg_hi:[1,0,0]
	v_mul_f16_sdwa v29, v49, v57 dst_sel:DWORD dst_unused:UNUSED_PAD src0_sel:DWORD src1_sel:WORD_1
	v_bfi_b32 v28, s2, v30, v28
	v_fma_f16 v29, v48, v57, v29
	v_mul_f16_sdwa v30, v48, v57 dst_sel:DWORD dst_unused:UNUSED_PAD src0_sel:DWORD src1_sel:WORD_1
	v_fma_f16 v30, v49, v57, -v30
	v_pk_add_f16 v48, v27, v28 neg_lo:[0,1] neg_hi:[0,1]
	v_sub_f16_e32 v29, v44, v29
	v_pk_fma_f16 v49, v27, 2.0, v48 op_sel_hi:[1,0,1] neg_lo:[0,0,1] neg_hi:[0,0,1]
	v_sub_f16_e32 v30, v47, v30
	v_fma_f16 v27, v44, 2.0, -v29
	v_pk_mul_f16 v44, v57, v22 op_sel:[0,1]
	v_fma_f16 v28, v47, 2.0, -v30
	v_pk_fma_f16 v47, v57, v22, v44 op_sel:[0,0,1] op_sel_hi:[1,1,0]
	v_pk_fma_f16 v22, v57, v22, v44 op_sel:[0,0,1] op_sel_hi:[1,0,0] neg_lo:[1,0,0] neg_hi:[1,0,0]
	v_bfi_b32 v22, s2, v47, v22
	v_pk_add_f16 v22, v46, v22 neg_lo:[0,1] neg_hi:[0,1]
	v_pk_fma_f16 v44, v46, 2.0, v22 op_sel_hi:[1,0,1] neg_lo:[0,0,1] neg_hi:[0,0,1]
	ds_write2_b32 v50, v44, v22 offset1:4
	v_pk_mul_f16 v22, v57, v23 op_sel:[0,1]
	v_pk_fma_f16 v44, v57, v23, v22 op_sel:[0,0,1] op_sel_hi:[1,1,0]
	v_pk_fma_f16 v22, v57, v23, v22 op_sel:[0,0,1] op_sel_hi:[1,0,0] neg_lo:[1,0,0] neg_hi:[1,0,0]
	v_bfi_b32 v22, s2, v44, v22
	v_pk_add_f16 v22, v45, v22 neg_lo:[0,1] neg_hi:[0,1]
	v_pk_fma_f16 v23, v45, 2.0, v22 op_sel_hi:[1,0,1] neg_lo:[0,0,1] neg_hi:[0,0,1]
	ds_write2_b32 v51, v23, v22 offset1:4
	v_pk_mul_f16 v22, v57, v20 op_sel:[0,1]
	;; [unrolled: 7-line block ×5, first 2 shown]
	v_pk_fma_f16 v20, v57, v19, v18 op_sel:[0,0,1] op_sel_hi:[1,1,0]
	v_pk_fma_f16 v18, v57, v19, v18 op_sel:[0,0,1] op_sel_hi:[1,0,0] neg_lo:[1,0,0] neg_hi:[1,0,0]
	v_bfi_b32 v18, s2, v20, v18
	v_pk_add_f16 v18, v31, v18 neg_lo:[0,1] neg_hi:[0,1]
	v_pk_fma_f16 v19, v31, 2.0, v18 op_sel_hi:[1,0,1] neg_lo:[0,0,1] neg_hi:[0,0,1]
	ds_write2_b32 v55, v19, v18 offset1:4
	ds_write2_b32 v56, v49, v48 offset1:4
	s_and_saveexec_b64 s[2:3], vcc
	s_cbranch_execz .LBB0_23
; %bb.22:
	s_movk_i32 s4, 0x6f8
	v_and_or_b32 v18, v26, s4, v32
	s_mov_b32 s4, 0x5040100
	v_lshl_add_u32 v18, v18, 2, 0
	v_perm_b32 v19, v28, v27, s4
	v_perm_b32 v20, v30, v29, s4
	ds_write2_b32 v18, v19, v20 offset1:4
.LBB0_23:
	s_or_b64 exec, exec, s[2:3]
	v_add_u32_e32 v18, 0xc00, v36
	v_add_u32_e32 v20, 0x1000, v36
	;; [unrolled: 1-line block ×3, first 2 shown]
	s_waitcnt lgkmcnt(0)
	s_barrier
	ds_read_b32 v31, v36
	ds_read2_b32 v[18:19], v18 offset0:72 offset1:184
	ds_read2_b32 v[20:21], v20 offset0:40 offset1:152
	;; [unrolled: 1-line block ×3, first 2 shown]
	ds_read_b32 v32, v42
	ds_read_b32 v33, v41
	;; [unrolled: 1-line block ×6, first 2 shown]
	ds_read_b32 v47, v36 offset:6048
	s_and_saveexec_b64 s[2:3], vcc
	s_cbranch_execz .LBB0_25
; %bb.24:
	ds_read_b32 v27, v37
	ds_read_b32 v29, v36 offset:6496
	s_waitcnt lgkmcnt(1)
	v_lshrrev_b32_e32 v28, 16, v27
	s_waitcnt lgkmcnt(0)
	v_lshrrev_b32_e32 v30, 16, v29
.LBB0_25:
	s_or_b64 exec, exec, s[2:3]
	v_and_b32_e32 v46, 7, v0
	v_lshlrev_b32_e32 v48, 2, v46
	global_load_dword v48, v48, s[8:9] offset:24
	s_movk_i32 s3, 0x1f0
	v_and_or_b32 v1, v1, s3, v46
	v_lshl_add_u32 v49, v1, 2, 0
	s_mov_b32 s7, 0xffff
	s_movk_i32 s2, 0xf0
	s_movk_i32 s4, 0x3f0
	;; [unrolled: 1-line block ×4, first 2 shown]
	v_and_or_b32 v25, v25, s2, v46
	v_and_or_b32 v5, v5, s4, v46
	;; [unrolled: 1-line block ×6, first 2 shown]
	v_lshl_add_u32 v25, v25, 2, 0
	v_lshl_add_u32 v5, v5, 2, 0
	;; [unrolled: 1-line block ×6, first 2 shown]
	s_waitcnt vmcnt(0) lgkmcnt(0)
	s_barrier
	v_pk_mul_f16 v1, v48, v47 op_sel:[0,1]
	v_mul_f16_sdwa v50, v30, v48 dst_sel:DWORD dst_unused:UNUSED_PAD src0_sel:DWORD src1_sel:WORD_1
	v_pk_mul_f16 v52, v48, v18 op_sel:[0,1]
	v_mul_f16_sdwa v51, v29, v48 dst_sel:DWORD dst_unused:UNUSED_PAD src0_sel:DWORD src1_sel:WORD_1
	v_pk_mul_f16 v53, v48, v19 op_sel:[0,1]
	v_pk_mul_f16 v54, v48, v20 op_sel:[0,1]
	;; [unrolled: 1-line block ×5, first 2 shown]
	v_pk_fma_f16 v58, v48, v47, v1 op_sel:[0,0,1] op_sel_hi:[1,1,0]
	v_pk_fma_f16 v1, v48, v47, v1 op_sel:[0,0,1] op_sel_hi:[1,0,0] neg_lo:[1,0,0] neg_hi:[1,0,0]
	v_fma_f16 v29, v29, v48, v50
	v_pk_fma_f16 v47, v48, v18, v52 op_sel:[0,0,1] op_sel_hi:[1,1,0]
	v_pk_fma_f16 v50, v48, v18, v52 op_sel:[0,0,1] op_sel_hi:[1,0,0] neg_lo:[1,0,0] neg_hi:[1,0,0]
	v_fma_f16 v30, v30, v48, -v51
	v_pk_fma_f16 v51, v48, v19, v53 op_sel:[0,0,1] op_sel_hi:[1,1,0]
	v_pk_fma_f16 v19, v48, v19, v53 op_sel:[0,0,1] op_sel_hi:[1,0,0] neg_lo:[1,0,0] neg_hi:[1,0,0]
	v_pk_fma_f16 v52, v48, v20, v54 op_sel:[0,0,1] op_sel_hi:[1,1,0]
	v_pk_fma_f16 v20, v48, v20, v54 op_sel:[0,0,1] op_sel_hi:[1,0,0] neg_lo:[1,0,0] neg_hi:[1,0,0]
	;; [unrolled: 2-line block ×5, first 2 shown]
	v_sub_f16_e32 v18, v27, v29
	v_bfi_b32 v29, s7, v47, v50
	v_bfi_b32 v48, s7, v58, v1
	;; [unrolled: 1-line block ×7, first 2 shown]
	v_pk_add_f16 v29, v31, v29 neg_lo:[0,1] neg_hi:[0,1]
	v_sub_f16_e32 v1, v28, v30
	v_pk_add_f16 v30, v45, v48 neg_lo:[0,1] neg_hi:[0,1]
	v_pk_add_f16 v19, v44, v19 neg_lo:[0,1] neg_hi:[0,1]
	;; [unrolled: 1-line block ×6, first 2 shown]
	v_pk_fma_f16 v31, v31, 2.0, v29 op_sel_hi:[1,0,1] neg_lo:[0,0,1] neg_hi:[0,0,1]
	v_pk_fma_f16 v45, v45, 2.0, v30 op_sel_hi:[1,0,1] neg_lo:[0,0,1] neg_hi:[0,0,1]
	;; [unrolled: 1-line block ×7, first 2 shown]
	ds_write2_b32 v25, v31, v29 offset1:8
	ds_write2_b32 v49, v44, v19 offset1:8
	;; [unrolled: 1-line block ×7, first 2 shown]
	s_and_saveexec_b64 s[2:3], vcc
	s_cbranch_execz .LBB0_27
; %bb.26:
	s_movk_i32 s4, 0x6f0
	v_and_or_b32 v5, v26, s4, v46
	v_fma_f16 v8, v27, 2.0, -v18
	v_fma_f16 v11, v28, 2.0, -v1
	s_mov_b32 s4, 0x5040100
	v_lshl_add_u32 v5, v5, 2, 0
	v_pack_b32_f16 v8, v8, v11
	v_perm_b32 v11, v1, v18, s4
	ds_write2_b32 v5, v8, v11 offset1:8
.LBB0_27:
	s_or_b64 exec, exec, s[2:3]
	v_and_b32_e32 v11, 15, v0
	v_lshlrev_b32_e32 v5, 3, v11
	s_waitcnt lgkmcnt(0)
	s_barrier
	global_load_dwordx2 v[19:20], v5, s[8:9] offset:56
	v_add_u32_e32 v8, 0x1000, v36
	v_add_u32_e32 v25, 0x1400, v36
	;; [unrolled: 1-line block ×3, first 2 shown]
	ds_read_b32 v5, v36
	v_add_u32_e32 v15, 0xa00, v36
	ds_read_b32 v29, v42
	ds_read_b32 v30, v41
	;; [unrolled: 1-line block ×5, first 2 shown]
	ds_read_b32 v34, v36 offset:6272
	ds_read2_b32 v[21:22], v8 offset0:96 offset1:208
	ds_read2_b32 v[23:24], v15 offset0:32 offset1:144
	ds_read2_b32 v[25:26], v25 offset0:64 offset1:176
	ds_read2_b32 v[27:28], v27 offset0:128 offset1:240
	s_waitcnt lgkmcnt(7)
	v_lshrrev_b32_e32 v47, 16, v31
	s_waitcnt lgkmcnt(3)
	v_lshrrev_b32_e32 v51, 16, v21
	;; [unrolled: 2-line block ×3, first 2 shown]
	v_lshrrev_b32_e32 v54, 16, v24
	s_waitcnt lgkmcnt(0)
	v_lshrrev_b32_e32 v48, 16, v27
	v_lshrrev_b32_e32 v50, 16, v28
	;; [unrolled: 1-line block ×7, first 2 shown]
	s_mov_b32 s2, 0xbaee
	s_movk_i32 s3, 0x3aee
	v_lshrrev_b32_e32 v15, 16, v33
	v_lshrrev_b32_e32 v35, 16, v29
	;; [unrolled: 1-line block ×4, first 2 shown]
	s_waitcnt vmcnt(0)
	s_barrier
	v_mul_f16_sdwa v56, v19, v47 dst_sel:DWORD dst_unused:UNUSED_PAD src0_sel:WORD_1 src1_sel:DWORD
	v_mul_f16_sdwa v58, v20, v51 dst_sel:DWORD dst_unused:UNUSED_PAD src0_sel:WORD_1 src1_sel:DWORD
	;; [unrolled: 1-line block ×8, first 2 shown]
	v_mul_f16_sdwa v68, v48, v19 dst_sel:DWORD dst_unused:UNUSED_PAD src0_sel:DWORD src1_sel:WORD_1
	v_mul_f16_sdwa v69, v27, v19 dst_sel:DWORD dst_unused:UNUSED_PAD src0_sel:DWORD src1_sel:WORD_1
	;; [unrolled: 1-line block ×4, first 2 shown]
	v_fma_f16 v31, v19, v31, v56
	v_fma_f16 v21, v20, v21, v58
	v_mul_f16_sdwa v62, v20, v53 dst_sel:DWORD dst_unused:UNUSED_PAD src0_sel:WORD_1 src1_sel:DWORD
	v_mul_f16_sdwa v63, v20, v22 dst_sel:DWORD dst_unused:UNUSED_PAD src0_sel:WORD_1 src1_sel:DWORD
	;; [unrolled: 1-line block ×4, first 2 shown]
	v_mul_f16_sdwa v70, v49, v20 dst_sel:DWORD dst_unused:UNUSED_PAD src0_sel:DWORD src1_sel:WORD_1
	v_mul_f16_sdwa v71, v26, v20 dst_sel:DWORD dst_unused:UNUSED_PAD src0_sel:DWORD src1_sel:WORD_1
	;; [unrolled: 1-line block ×4, first 2 shown]
	v_fma_f16 v47, v19, v47, -v57
	v_fma_f16 v51, v20, v51, -v59
	v_fma_f16 v23, v19, v23, v60
	v_fma_f16 v52, v19, v52, -v61
	v_fma_f16 v24, v19, v24, v64
	;; [unrolled: 2-line block ×4, first 2 shown]
	v_fma_f16 v19, v50, v19, -v73
	v_add_f16_e32 v50, v31, v21
	v_fma_f16 v22, v20, v22, v62
	v_fma_f16 v53, v20, v53, -v63
	v_fma_f16 v25, v20, v25, v66
	v_fma_f16 v55, v20, v55, -v67
	;; [unrolled: 2-line block ×4, first 2 shown]
	v_add_f16_e32 v46, v5, v31
	v_sub_f16_e32 v56, v47, v51
	v_add_f16_e32 v57, v8, v47
	v_fma_f16 v5, v50, -0.5, v5
	v_add_f16_e32 v50, v57, v51
	v_fma_f16 v57, v56, s2, v5
	v_fma_f16 v56, v56, s3, v5
	v_add_f16_e32 v5, v47, v51
	v_fma_f16 v5, v5, -0.5, v8
	v_sub_f16_e32 v8, v31, v21
	v_add_f16_e32 v46, v46, v21
	v_fma_f16 v21, v8, s3, v5
	v_fma_f16 v31, v8, s2, v5
	v_add_f16_e32 v5, v33, v23
	v_add_f16_e32 v47, v5, v22
	v_add_f16_e32 v5, v23, v22
	v_fma_f16 v5, v5, -0.5, v33
	v_sub_f16_e32 v8, v52, v53
	v_fma_f16 v33, v8, s2, v5
	v_fma_f16 v51, v8, s3, v5
	v_add_f16_e32 v5, v15, v52
	v_add_f16_e32 v58, v5, v53
	v_add_f16_e32 v5, v52, v53
	v_fma_f16 v5, v5, -0.5, v15
	v_sub_f16_e32 v8, v23, v22
	;; [unrolled: 7-line block ×8, first 2 shown]
	v_fma_f16 v20, v19, s3, v8
	v_fma_f16 v8, v19, s2, v8
	v_lshrrev_b32_e32 v19, 4, v0
	v_lshrrev_b32_e32 v34, 4, v4
	v_mul_u32_u24_e32 v19, 48, v19
	v_mul_lo_u32 v34, v34, 48
	v_or_b32_e32 v19, v19, v11
	v_lshl_add_u32 v19, v19, 2, 0
	v_pack_b32_f16 v28, v46, v50
	v_pack_b32_f16 v21, v57, v21
	ds_write2_b32 v19, v28, v21 offset1:16
	v_pack_b32_f16 v21, v56, v31
	v_lshrrev_b32_e32 v28, 4, v13
	ds_write_b32 v19, v21 offset:128
	v_or_b32_e32 v19, v34, v11
	v_mul_lo_u32 v28, v28, 48
	v_lshl_add_u32 v19, v19, 2, 0
	v_pack_b32_f16 v21, v47, v58
	v_pack_b32_f16 v15, v33, v15
	ds_write2_b32 v19, v21, v15 offset1:16
	v_pack_b32_f16 v15, v51, v22
	v_lshrrev_b32_e32 v22, 4, v10
	v_mul_lo_u32 v22, v22, 48
	ds_write_b32 v19, v15 offset:128
	v_or_b32_e32 v15, v28, v11
	v_lshl_add_u32 v15, v15, 2, 0
	v_pack_b32_f16 v19, v23, v53
	v_pack_b32_f16 v21, v29, v24
	ds_write2_b32 v15, v19, v21 offset1:16
	v_pack_b32_f16 v19, v52, v25
	ds_write_b32 v15, v19 offset:128
	v_or_b32_e32 v15, v22, v11
	v_lshrrev_b32_e32 v22, 4, v7
	v_mul_lo_u32 v22, v22, 48
	v_lshl_add_u32 v15, v15, 2, 0
	v_pack_b32_f16 v19, v35, v55
	v_pack_b32_f16 v21, v30, v26
	ds_write2_b32 v15, v19, v21 offset1:16
	v_pack_b32_f16 v19, v54, v27
	v_or_b32_e32 v11, v22, v11
	ds_write_b32 v15, v19 offset:128
	v_lshl_add_u32 v11, v11, 2, 0
	v_pack_b32_f16 v15, v44, v48
	v_pack_b32_f16 v19, v32, v20
	ds_write2_b32 v11, v15, v19 offset1:16
	v_pack_b32_f16 v15, v5, v8
	ds_write_b32 v11, v15 offset:128
	v_add_u32_e32 v11, 0x80, v36
	v_add_u32_e32 v15, 64, v36
	s_waitcnt lgkmcnt(0)
	s_barrier
	ds_read2_b32 v[24:25], v36 offset1:240
	ds_read2st64_b32 v[32:33], v11 offset0:5 offset1:7
	ds_read2st64_b32 v[34:35], v15 offset0:9 offset1:11
	;; [unrolled: 1-line block ×3, first 2 shown]
	v_add_u32_e32 v15, 0xc0, v36
	ds_read2st64_b32 v[30:31], v15 offset0:16 offset1:18
	ds_read2st64_b32 v[26:27], v11 offset0:20 offset1:22
	ds_read_b32 v47, v43
	ds_read_b32 v50, v36 offset:6208
	v_cmp_gt_u32_e64 s[2:3], 16, v0
                                        ; implicit-def: $vgpr11
                                        ; implicit-def: $vgpr15
                                        ; implicit-def: $vgpr21
                                        ; implicit-def: $vgpr46
                                        ; implicit-def: $vgpr23
                                        ; implicit-def: $vgpr44
                                        ; implicit-def: $vgpr45
	s_and_saveexec_b64 s[4:5], s[2:3]
	s_cbranch_execz .LBB0_29
; %bb.28:
	v_add_u32_e32 v1, 0x740, v36
	ds_read_b32 v5, v42
	v_add_u32_e32 v8, 0xec0, v36
	ds_read2_b32 v[18:19], v1 offset1:240
	ds_read2_b32 v[20:21], v8 offset1:240
	v_add_u32_e32 v1, 0x1640, v36
	ds_read2_b32 v[22:23], v1 offset1:240
	s_waitcnt lgkmcnt(3)
	v_lshrrev_b32_e32 v8, 16, v5
	s_waitcnt lgkmcnt(2)
	v_lshrrev_b32_e32 v1, 16, v18
	v_lshrrev_b32_e32 v11, 16, v19
	s_waitcnt lgkmcnt(1)
	v_lshrrev_b32_e32 v45, 16, v20
	;; [unrolled: 3-line block ×3, first 2 shown]
	v_lshrrev_b32_e32 v46, 16, v23
.LBB0_29:
	s_or_b64 exec, exec, s[4:5]
	s_movk_i32 s4, 0xab
	v_mul_lo_u16_sdwa v48, v0, s4 dst_sel:DWORD dst_unused:UNUSED_PAD src0_sel:BYTE_0 src1_sel:DWORD
	v_lshrrev_b16_e32 v48, 13, v48
	v_mul_lo_u16_e32 v49, 48, v48
	v_sub_u16_e32 v49, v0, v49
	v_mov_b32_e32 v67, 6
	v_mul_u32_u24_sdwa v51, v49, v67 dst_sel:DWORD dst_unused:UNUSED_PAD src0_sel:BYTE_0 src1_sel:DWORD
	v_lshlrev_b32_e32 v68, 2, v51
	global_load_dwordx4 v[51:54], v68, s[8:9] offset:184
	s_waitcnt lgkmcnt(7)
	v_lshrrev_b32_e32 v59, 16, v25
	s_waitcnt lgkmcnt(6)
	v_lshrrev_b32_e32 v60, 16, v33
	;; [unrolled: 2-line block ×6, first 2 shown]
	v_lshrrev_b32_e32 v65, 16, v32
	v_lshrrev_b32_e32 v66, 16, v34
	;; [unrolled: 1-line block ×5, first 2 shown]
	s_waitcnt lgkmcnt(0)
	v_lshrrev_b32_e32 v58, 16, v50
	s_movk_i32 s11, 0x2b26
	s_mov_b32 s6, 0xbb00
	s_mov_b32 s10, 0xbcab
	s_movk_i32 s7, 0x39e0
	s_mov_b32 s15, 0xb9e0
	s_mov_b32 s16, 0xb574
	s_movk_i32 s17, 0x3574
	s_mov_b32 s14, 0xb70e
	v_mul_u32_u24_e32 v48, 0x540, v48
	s_waitcnt vmcnt(0)
	v_mul_f16_sdwa v69, v51, v59 dst_sel:DWORD dst_unused:UNUSED_PAD src0_sel:WORD_1 src1_sel:DWORD
	v_fma_f16 v69, v51, v25, v69
	v_mul_f16_sdwa v25, v51, v25 dst_sel:DWORD dst_unused:UNUSED_PAD src0_sel:WORD_1 src1_sel:DWORD
	v_fma_f16 v25, v51, v59, -v25
	v_mul_f16_sdwa v51, v52, v60 dst_sel:DWORD dst_unused:UNUSED_PAD src0_sel:WORD_1 src1_sel:DWORD
	v_fma_f16 v59, v52, v33, v51
	v_mul_f16_sdwa v33, v52, v33 dst_sel:DWORD dst_unused:UNUSED_PAD src0_sel:WORD_1 src1_sel:DWORD
	v_mul_f16_sdwa v51, v53, v61 dst_sel:DWORD dst_unused:UNUSED_PAD src0_sel:WORD_1 src1_sel:DWORD
	v_fma_f16 v33, v52, v60, -v33
	v_fma_f16 v60, v53, v35, v51
	v_mul_f16_sdwa v35, v53, v35 dst_sel:DWORD dst_unused:UNUSED_PAD src0_sel:WORD_1 src1_sel:DWORD
	v_mul_f16_sdwa v51, v54, v62 dst_sel:DWORD dst_unused:UNUSED_PAD src0_sel:WORD_1 src1_sel:DWORD
	v_fma_f16 v35, v53, v61, -v35
	v_fma_f16 v61, v54, v29, v51
	global_load_dwordx2 v[51:52], v68, s[8:9] offset:200
	v_mul_f16_sdwa v29, v54, v29 dst_sel:DWORD dst_unused:UNUSED_PAD src0_sel:WORD_1 src1_sel:DWORD
	v_fma_f16 v29, v54, v62, -v29
	s_waitcnt vmcnt(0)
	v_mul_f16_sdwa v53, v51, v63 dst_sel:DWORD dst_unused:UNUSED_PAD src0_sel:WORD_1 src1_sel:DWORD
	v_fma_f16 v62, v51, v31, v53
	v_mul_f16_sdwa v31, v51, v31 dst_sel:DWORD dst_unused:UNUSED_PAD src0_sel:WORD_1 src1_sel:DWORD
	v_fma_f16 v31, v51, v63, -v31
	v_mul_f16_sdwa v51, v52, v64 dst_sel:DWORD dst_unused:UNUSED_PAD src0_sel:WORD_1 src1_sel:DWORD
	v_fma_f16 v63, v52, v27, v51
	v_mul_f16_sdwa v27, v52, v27 dst_sel:DWORD dst_unused:UNUSED_PAD src0_sel:WORD_1 src1_sel:DWORD
	v_fma_f16 v64, v52, v64, -v27
	v_mul_lo_u16_sdwa v27, v4, s4 dst_sel:DWORD dst_unused:UNUSED_PAD src0_sel:BYTE_0 src1_sel:DWORD
	v_lshrrev_b16_e32 v68, 13, v27
	v_mul_lo_u16_e32 v27, 48, v68
	v_sub_u16_e32 v70, v4, v27
	v_mul_u32_u24_sdwa v27, v70, v67 dst_sel:DWORD dst_unused:UNUSED_PAD src0_sel:BYTE_0 src1_sel:DWORD
	v_lshlrev_b32_e32 v27, 2, v27
	global_load_dwordx4 v[51:54], v27, s[8:9] offset:184
	s_waitcnt vmcnt(0)
	v_mul_f16_sdwa v67, v51, v65 dst_sel:DWORD dst_unused:UNUSED_PAD src0_sel:WORD_1 src1_sel:DWORD
	v_fma_f16 v67, v51, v32, v67
	v_mul_f16_sdwa v32, v51, v32 dst_sel:DWORD dst_unused:UNUSED_PAD src0_sel:WORD_1 src1_sel:DWORD
	v_fma_f16 v32, v51, v65, -v32
	v_mul_f16_sdwa v51, v52, v66 dst_sel:DWORD dst_unused:UNUSED_PAD src0_sel:WORD_1 src1_sel:DWORD
	v_fma_f16 v51, v52, v34, v51
	v_mul_f16_sdwa v34, v52, v34 dst_sel:DWORD dst_unused:UNUSED_PAD src0_sel:WORD_1 src1_sel:DWORD
	v_fma_f16 v34, v52, v66, -v34
	v_mul_f16_sdwa v52, v55, v53 dst_sel:DWORD dst_unused:UNUSED_PAD src0_sel:DWORD src1_sel:WORD_1
	v_fma_f16 v52, v28, v53, v52
	v_mul_f16_sdwa v28, v28, v53 dst_sel:DWORD dst_unused:UNUSED_PAD src0_sel:DWORD src1_sel:WORD_1
	v_fma_f16 v53, v55, v53, -v28
	v_mul_f16_sdwa v28, v56, v54 dst_sel:DWORD dst_unused:UNUSED_PAD src0_sel:DWORD src1_sel:WORD_1
	v_fma_f16 v55, v30, v54, v28
	v_mul_f16_sdwa v28, v30, v54 dst_sel:DWORD dst_unused:UNUSED_PAD src0_sel:DWORD src1_sel:WORD_1
	v_fma_f16 v30, v56, v54, -v28
	global_load_dwordx2 v[27:28], v27, s[8:9] offset:200
	v_add_f16_e32 v56, v25, v64
	v_sub_f16_e32 v25, v25, v64
	s_waitcnt vmcnt(0)
	s_barrier
	v_mul_f16_sdwa v54, v57, v27 dst_sel:DWORD dst_unused:UNUSED_PAD src0_sel:DWORD src1_sel:WORD_1
	v_fma_f16 v54, v26, v27, v54
	v_mul_f16_sdwa v26, v26, v27 dst_sel:DWORD dst_unused:UNUSED_PAD src0_sel:DWORD src1_sel:WORD_1
	v_fma_f16 v26, v57, v27, -v26
	v_mul_f16_sdwa v27, v58, v28 dst_sel:DWORD dst_unused:UNUSED_PAD src0_sel:DWORD src1_sel:WORD_1
	v_fma_f16 v27, v50, v28, v27
	v_mul_f16_sdwa v50, v50, v28 dst_sel:DWORD dst_unused:UNUSED_PAD src0_sel:DWORD src1_sel:WORD_1
	v_fma_f16 v28, v58, v28, -v50
	v_add_f16_e32 v50, v69, v63
	v_sub_f16_e32 v57, v69, v63
	v_add_f16_e32 v58, v59, v62
	v_add_f16_e32 v63, v33, v31
	v_sub_f16_e32 v59, v59, v62
	v_sub_f16_e32 v31, v33, v31
	v_add_f16_e32 v33, v60, v61
	v_add_f16_e32 v62, v35, v29
	v_sub_f16_e32 v60, v61, v60
	;; [unrolled: 4-line block ×3, first 2 shown]
	v_sub_f16_e32 v65, v63, v56
	v_sub_f16_e32 v50, v50, v33
	;; [unrolled: 1-line block ×5, first 2 shown]
	v_add_f16_e32 v66, v60, v59
	v_add_f16_e32 v69, v29, v31
	v_sub_f16_e32 v71, v60, v59
	v_sub_f16_e32 v72, v29, v31
	;; [unrolled: 1-line block ×4, first 2 shown]
	v_add_f16_e32 v33, v33, v35
	v_add_f16_e32 v35, v62, v61
	v_sub_f16_e32 v60, v57, v60
	v_sub_f16_e32 v29, v25, v29
	v_add_f16_e32 v57, v66, v57
	v_add_f16_e32 v25, v69, v25
	;; [unrolled: 1-line block ×3, first 2 shown]
	v_add_f16_sdwa v24, v35, v24 dst_sel:DWORD dst_unused:UNUSED_PAD src0_sel:DWORD src1_sel:WORD_1
	v_mul_f16_e32 v50, 0x3a52, v50
	v_mul_f16_e32 v56, 0x3a52, v56
	;; [unrolled: 1-line block ×8, first 2 shown]
	v_fma_f16 v33, v33, s10, v61
	v_fma_f16 v35, v35, s10, v24
	;; [unrolled: 1-line block ×4, first 2 shown]
	v_fma_f16 v62, v64, s7, -v62
	v_fma_f16 v66, v65, s7, -v66
	;; [unrolled: 1-line block ×4, first 2 shown]
	v_fma_f16 v64, v60, s16, v69
	v_fma_f16 v65, v29, s16, v71
	v_fma_f16 v59, v59, s6, -v69
	v_fma_f16 v31, v31, s6, -v71
	;; [unrolled: 1-line block ×4, first 2 shown]
	v_add_f16_e32 v58, v58, v33
	v_add_f16_e32 v63, v63, v35
	;; [unrolled: 1-line block ×6, first 2 shown]
	v_fma_f16 v50, v57, s14, v64
	v_fma_f16 v56, v25, s14, v65
	;; [unrolled: 1-line block ×6, first 2 shown]
	v_add_f16_e32 v29, v56, v58
	v_add_f16_e32 v64, v25, v33
	v_sub_f16_e32 v65, v35, v57
	v_sub_f16_e32 v25, v33, v25
	v_add_f16_e32 v33, v57, v35
	v_sub_f16_e32 v35, v58, v56
	v_add_f16_e32 v56, v67, v27
	v_add_f16_e32 v57, v32, v28
	v_sub_f16_e32 v28, v32, v28
	v_add_f16_e32 v32, v51, v54
	v_add_f16_e32 v58, v34, v26
	v_sub_f16_e32 v27, v67, v27
	v_sub_f16_e32 v51, v51, v54
	;; [unrolled: 1-line block ×3, first 2 shown]
	v_add_f16_e32 v34, v52, v55
	v_add_f16_e32 v54, v53, v30
	v_sub_f16_e32 v52, v55, v52
	v_sub_f16_e32 v30, v30, v53
	v_add_f16_e32 v53, v32, v56
	v_add_f16_e32 v55, v58, v57
	v_sub_f16_e32 v60, v63, v50
	v_sub_f16_e32 v69, v62, v31
	v_add_f16_e32 v71, v59, v66
	v_add_f16_e32 v31, v31, v62
	v_sub_f16_e32 v59, v66, v59
	v_add_f16_e32 v50, v50, v63
	v_sub_f16_e32 v62, v32, v56
	v_sub_f16_e32 v63, v58, v57
	;; [unrolled: 1-line block ×6, first 2 shown]
	v_add_f16_e32 v66, v52, v51
	v_add_f16_e32 v67, v30, v26
	v_sub_f16_e32 v72, v52, v51
	v_sub_f16_e32 v73, v30, v26
	v_sub_f16_e32 v51, v51, v27
	v_add_f16_e32 v34, v34, v53
	v_add_f16_e32 v53, v54, v55
	v_sub_f16_e32 v52, v27, v52
	v_sub_f16_e32 v30, v28, v30
	;; [unrolled: 1-line block ×3, first 2 shown]
	v_add_f16_e32 v27, v66, v27
	v_add_f16_e32 v28, v67, v28
	;; [unrolled: 1-line block ×3, first 2 shown]
	v_add_f16_sdwa v47, v53, v47 dst_sel:DWORD dst_unused:UNUSED_PAD src0_sel:DWORD src1_sel:WORD_1
	v_mul_f16_e32 v55, 0x3a52, v56
	v_mul_f16_e32 v56, 0x3a52, v57
	;; [unrolled: 1-line block ×7, first 2 shown]
	v_fma_f16 v34, v34, s10, v54
	v_fma_f16 v53, v53, s10, v47
	v_fma_f16 v32, v32, s11, v55
	v_fma_f16 v58, v58, s11, v56
	v_fma_f16 v57, v62, s7, -v57
	v_fma_f16 v66, v63, s7, -v66
	;; [unrolled: 1-line block ×4, first 2 shown]
	v_fma_f16 v62, v52, s16, v67
	v_fma_f16 v51, v51, s6, -v67
	v_fma_f16 v52, v52, s17, -v73
	v_fma_f16 v63, v30, s16, v72
	v_add_f16_e32 v32, v32, v34
	v_add_f16_e32 v58, v58, v53
	;; [unrolled: 1-line block ×6, first 2 shown]
	v_fma_f16 v55, v27, s14, v62
	v_fma_f16 v51, v27, s14, v51
	;; [unrolled: 1-line block ×4, first 2 shown]
	v_sub_f16_e32 v63, v53, v27
	v_add_f16_e32 v27, v27, v53
	v_mov_b32_e32 v53, 2
	v_lshlrev_b32_sdwa v49, v53, v49 dst_sel:DWORD dst_unused:UNUSED_PAD src0_sel:DWORD src1_sel:BYTE_0
	v_add3_u32 v48, 0, v48, v49
	v_pack_b32_f16 v24, v61, v24
	v_pack_b32_f16 v29, v29, v60
	ds_write2_b32 v48, v24, v29 offset1:48
	v_pack_b32_f16 v24, v64, v65
	v_pack_b32_f16 v29, v69, v71
	v_mul_f16_e32 v74, 0xbb00, v26
	ds_write2_b32 v48, v24, v29 offset0:96 offset1:144
	v_pack_b32_f16 v24, v31, v59
	v_pack_b32_f16 v25, v25, v33
	v_fma_f16 v26, v26, s6, -v72
	v_fma_f16 v30, v30, s17, -v74
	ds_write2_b32 v48, v24, v25 offset0:192 offset1:240
	v_pack_b32_f16 v24, v35, v50
	v_fma_f16 v26, v28, s14, v26
	v_fma_f16 v28, v28, s14, v30
	v_add_f16_e32 v30, v56, v32
	v_sub_f16_e32 v52, v58, v55
	ds_write_b32 v48, v24 offset:1152
	v_mul_u32_u24_e32 v24, 0x540, v68
	v_lshlrev_b32_sdwa v25, v53, v70 dst_sel:DWORD dst_unused:UNUSED_PAD src0_sel:DWORD src1_sel:BYTE_0
	v_add_f16_e32 v62, v28, v34
	v_sub_f16_e32 v67, v57, v26
	v_add_f16_e32 v72, v51, v66
	v_add3_u32 v24, 0, v24, v25
	v_pack_b32_f16 v25, v54, v47
	v_pack_b32_f16 v29, v30, v52
	v_add_f16_e32 v26, v26, v57
	v_sub_f16_e32 v51, v66, v51
	v_sub_f16_e32 v28, v34, v28
	ds_write2_b32 v24, v25, v29 offset1:48
	v_pack_b32_f16 v25, v62, v63
	v_pack_b32_f16 v29, v67, v72
	v_sub_f16_e32 v32, v32, v56
	v_add_f16_e32 v34, v55, v58
	ds_write2_b32 v24, v25, v29 offset0:96 offset1:144
	v_pack_b32_f16 v25, v26, v51
	v_pack_b32_f16 v26, v28, v27
	ds_write2_b32 v24, v25, v26 offset0:192 offset1:240
	v_pack_b32_f16 v25, v32, v34
	ds_write_b32 v24, v25 offset:1152
	s_and_saveexec_b64 s[4:5], s[2:3]
	s_cbranch_execz .LBB0_31
; %bb.30:
	s_mov_b32 s2, 0xaaab
	v_mul_u32_u24_sdwa v24, v13, s2 dst_sel:DWORD dst_unused:UNUSED_PAD src0_sel:WORD_0 src1_sel:DWORD
	v_lshrrev_b32_e32 v24, 21, v24
	v_mul_lo_u16_e32 v24, 48, v24
	v_sub_u16_e32 v30, v13, v24
	v_mul_u32_u24_e32 v24, 6, v30
	v_lshlrev_b32_e32 v31, 2, v24
	global_load_dwordx4 v[24:27], v31, s[8:9] offset:184
	global_load_dwordx2 v[28:29], v31, s[8:9] offset:200
	s_waitcnt vmcnt(1)
	v_mul_f16_sdwa v31, v1, v24 dst_sel:DWORD dst_unused:UNUSED_PAD src0_sel:DWORD src1_sel:WORD_1
	s_waitcnt vmcnt(0)
	v_mul_f16_sdwa v32, v46, v29 dst_sel:DWORD dst_unused:UNUSED_PAD src0_sel:DWORD src1_sel:WORD_1
	v_mul_f16_sdwa v33, v15, v27 dst_sel:DWORD dst_unused:UNUSED_PAD src0_sel:DWORD src1_sel:WORD_1
	;; [unrolled: 1-line block ×11, first 2 shown]
	v_fma_f16 v18, v18, v24, v31
	v_fma_f16 v23, v23, v29, v32
	;; [unrolled: 1-line block ×6, first 2 shown]
	v_fma_f16 v29, v46, v29, -v48
	v_fma_f16 v1, v1, v24, -v49
	;; [unrolled: 1-line block ×6, first 2 shown]
	v_sub_f16_e32 v25, v18, v23
	v_sub_f16_e32 v27, v21, v20
	;; [unrolled: 1-line block ×3, first 2 shown]
	v_add_f16_e32 v31, v1, v29
	v_add_f16_e32 v32, v24, v15
	;; [unrolled: 1-line block ×6, first 2 shown]
	v_sub_f16_e32 v1, v1, v29
	v_sub_f16_e32 v15, v15, v24
	;; [unrolled: 1-line block ×5, first 2 shown]
	v_add_f16_e32 v23, v27, v28
	v_sub_f16_e32 v24, v31, v32
	v_add_f16_e32 v27, v33, v31
	v_sub_f16_e32 v29, v18, v20
	;; [unrolled: 2-line block ×3, first 2 shown]
	v_sub_f16_e32 v45, v15, v11
	v_add_f16_e32 v15, v15, v11
	v_sub_f16_e32 v28, v28, v25
	v_sub_f16_e32 v11, v11, v1
	;; [unrolled: 1-line block ×6, first 2 shown]
	v_mul_f16_e32 v19, 0x3846, v22
	v_add_f16_e32 v22, v23, v25
	v_mul_f16_e32 v23, 0x3a52, v24
	v_add_f16_e32 v25, v32, v27
	;; [unrolled: 2-line block ×4, first 2 shown]
	v_mul_f16_e32 v15, 0xbb00, v28
	v_mul_f16_e32 v33, 0xbb00, v11
	;; [unrolled: 1-line block ×4, first 2 shown]
	v_fma_f16 v35, v21, s16, v19
	v_fma_f16 v26, v26, s11, v23
	v_add_f16_e32 v8, v8, v25
	v_fma_f16 v34, v34, s11, v27
	v_add_f16_e32 v5, v5, v20
	v_fma_f16 v45, v44, s16, v32
	v_fma_f16 v15, v21, s17, -v15
	v_fma_f16 v21, v31, s15, -v23
	;; [unrolled: 1-line block ×5, first 2 shown]
	v_fma_f16 v33, v22, s14, v35
	v_fma_f16 v25, v25, s10, v8
	;; [unrolled: 1-line block ×6, first 2 shown]
	v_fma_f16 v11, v18, s7, -v29
	v_fma_f16 v15, v22, s14, v15
	v_add_f16_e32 v26, v26, v25
	v_add_f16_e32 v34, v34, v20
	;; [unrolled: 1-line block ×4, first 2 shown]
	v_fma_f16 v24, v31, s7, -v24
	v_fma_f16 v19, v28, s6, -v19
	v_add_f16_e32 v11, v11, v20
	v_add_f16_e32 v46, v15, v21
	v_sub_f16_e32 v47, v23, v27
	v_add_f16_e32 v24, v24, v25
	v_fma_f16 v19, v22, s14, v19
	v_add_f16_e32 v18, v1, v11
	v_sub_f16_e32 v1, v11, v1
	v_sub_f16_e32 v11, v21, v15
	v_add_f16_e32 v15, v27, v23
	v_sub_f16_e32 v20, v26, v33
	v_add_f16_e32 v21, v35, v34
	v_lshl_add_u32 v23, v30, 2, 0
	v_sub_f16_e32 v22, v24, v19
	v_add_f16_e32 v19, v19, v24
	v_pack_b32_f16 v5, v5, v8
	v_pack_b32_f16 v8, v21, v20
	v_add_u32_e32 v20, 0x1400, v23
	ds_write2_b32 v20, v5, v8 offset0:64 offset1:112
	v_pack_b32_f16 v5, v15, v11
	v_pack_b32_f16 v1, v1, v19
	v_add_f16_e32 v44, v33, v26
	v_sub_f16_e32 v45, v34, v35
	ds_write2_b32 v20, v5, v1 offset0:160 offset1:208
	v_pack_b32_f16 v1, v18, v22
	v_pack_b32_f16 v5, v47, v46
	v_add_u32_e32 v8, 0x1800, v23
	ds_write2_b32 v8, v1, v5 offset1:48
	v_pack_b32_f16 v1, v45, v44
	ds_write_b32 v23, v1 offset:6528
.LBB0_31:
	s_or_b64 exec, exec, s[4:5]
	v_mov_b32_e32 v15, 0
	v_lshlrev_b64 v[18:19], 2, v[14:15]
	v_mov_b32_e32 v1, s9
	v_add_co_u32_e64 v18, s[2:3], s8, v18
	v_addc_co_u32_e64 v19, s[2:3], v1, v19, s[2:3]
	s_waitcnt lgkmcnt(0)
	s_barrier
	global_load_dwordx4 v[19:22], v[18:19], off offset:1336
	v_mov_b32_e32 v18, v15
	v_lshlrev_b64 v[17:18], 2, v[17:18]
	v_add_u32_e32 v5, 0xc00, v36
	v_add_co_u32_e64 v17, s[2:3], s8, v17
	v_addc_co_u32_e64 v18, s[2:3], v1, v18, s[2:3]
	global_load_dwordx4 v[23:26], v[17:18], off offset:1336
	v_mov_b32_e32 v17, v15
	v_lshlrev_b64 v[16:17], 2, v[16:17]
	v_add_u32_e32 v8, 0x1400, v36
	v_add_co_u32_e64 v16, s[2:3], s8, v16
	v_addc_co_u32_e64 v17, s[2:3], v1, v17, s[2:3]
	global_load_dwordx4 v[27:30], v[16:17], off offset:1336
	ds_read2st64_b32 v[16:17], v36 offset1:7
	ds_read_b32 v1, v38
	ds_read_u16 v11, v36 offset:1794
	v_add_u32_e32 v18, 0x880, v36
	v_add_u32_e32 v35, 0x1000, v36
	ds_read_b32 v48, v41
	ds_read_b32 v49, v42
	;; [unrolled: 1-line block ×3, first 2 shown]
	ds_read_b32 v51, v36 offset:6272
	ds_read2_b32 v[31:32], v5 offset0:128 offset1:240
	ds_read2_b32 v[33:34], v8 offset0:64 offset1:176
	;; [unrolled: 1-line block ×4, first 2 shown]
	s_waitcnt lgkmcnt(7)
	v_lshrrev_b32_e32 v52, 16, v48
	v_lshrrev_b32_e32 v53, 16, v1
	s_waitcnt lgkmcnt(3)
	v_lshrrev_b32_e32 v60, 16, v32
	s_waitcnt lgkmcnt(1)
	v_lshrrev_b32_e32 v54, 16, v45
	s_waitcnt lgkmcnt(0)
	v_lshrrev_b32_e32 v55, 16, v46
	v_lshrrev_b32_e32 v57, 16, v44
	;; [unrolled: 1-line block ×7, first 2 shown]
	s_mov_b32 s2, 0xbb9c
	s_movk_i32 s5, 0x3b9c
	s_mov_b32 s3, 0xb8b4
	s_movk_i32 s6, 0x38b4
	s_movk_i32 s4, 0x34f2
	v_lshrrev_b32_e32 v5, 16, v16
	v_lshrrev_b32_e32 v8, 16, v50
	;; [unrolled: 1-line block ×3, first 2 shown]
	s_waitcnt vmcnt(0)
	s_barrier
	v_mul_f16_sdwa v62, v19, v52 dst_sel:DWORD dst_unused:UNUSED_PAD src0_sel:WORD_1 src1_sel:DWORD
	v_mul_f16_sdwa v63, v19, v48 dst_sel:DWORD dst_unused:UNUSED_PAD src0_sel:WORD_1 src1_sel:DWORD
	;; [unrolled: 1-line block ×8, first 2 shown]
	v_fma_f16 v48, v19, v48, v62
	v_fma_f16 v19, v19, v52, -v63
	v_fma_f16 v1, v20, v1, v64
	v_fma_f16 v20, v20, v53, -v65
	;; [unrolled: 2-line block ×3, first 2 shown]
	v_mul_f16_sdwa v52, v11, v23 dst_sel:DWORD dst_unused:UNUSED_PAD src0_sel:DWORD src1_sel:WORD_1
	v_mul_f16_sdwa v53, v23, v17 dst_sel:DWORD dst_unused:UNUSED_PAD src0_sel:WORD_1 src1_sel:DWORD
	v_mul_f16_sdwa v60, v54, v24 dst_sel:DWORD dst_unused:UNUSED_PAD src0_sel:DWORD src1_sel:WORD_1
	v_mul_f16_sdwa v62, v55, v25 dst_sel:DWORD dst_unused:UNUSED_PAD src0_sel:DWORD src1_sel:WORD_1
	;; [unrolled: 1-line block ×3, first 2 shown]
	v_fma_f16 v33, v22, v33, v68
	v_fma_f16 v22, v22, v61, -v69
	v_mul_f16_sdwa v61, v45, v24 dst_sel:DWORD dst_unused:UNUSED_PAD src0_sel:DWORD src1_sel:WORD_1
	v_mul_f16_sdwa v63, v46, v25 dst_sel:DWORD dst_unused:UNUSED_PAD src0_sel:DWORD src1_sel:WORD_1
	v_fma_f16 v17, v23, v17, v52
	v_fma_f16 v11, v11, v23, -v53
	v_fma_f16 v23, v45, v24, v60
	v_fma_f16 v45, v46, v25, v62
	;; [unrolled: 1-line block ×3, first 2 shown]
	v_mul_f16_sdwa v44, v44, v27 dst_sel:DWORD dst_unused:UNUSED_PAD src0_sel:DWORD src1_sel:WORD_1
	v_fma_f16 v27, v57, v27, -v44
	v_mul_f16_sdwa v44, v58, v28 dst_sel:DWORD dst_unused:UNUSED_PAD src0_sel:DWORD src1_sel:WORD_1
	v_fma_f16 v44, v31, v28, v44
	v_mul_f16_sdwa v31, v31, v28 dst_sel:DWORD dst_unused:UNUSED_PAD src0_sel:DWORD src1_sel:WORD_1
	v_fma_f16 v28, v58, v28, -v31
	v_mul_f16_sdwa v31, v59, v29 dst_sel:DWORD dst_unused:UNUSED_PAD src0_sel:DWORD src1_sel:WORD_1
	v_fma_f16 v31, v47, v29, v31
	;; [unrolled: 4-line block ×3, first 2 shown]
	v_mul_f16_sdwa v51, v51, v30 dst_sel:DWORD dst_unused:UNUSED_PAD src0_sel:DWORD src1_sel:WORD_1
	v_fma_f16 v30, v35, v30, -v51
	v_add_f16_e32 v51, v1, v32
	v_mul_f16_sdwa v64, v56, v26 dst_sel:DWORD dst_unused:UNUSED_PAD src0_sel:DWORD src1_sel:WORD_1
	v_mul_f16_sdwa v65, v34, v26 dst_sel:DWORD dst_unused:UNUSED_PAD src0_sel:DWORD src1_sel:WORD_1
	v_fma_f16 v51, v51, -0.5, v16
	v_sub_f16_e32 v52, v19, v22
	v_fma_f16 v24, v54, v24, -v61
	v_fma_f16 v25, v55, v25, -v63
	v_fma_f16 v34, v34, v26, v64
	v_fma_f16 v26, v56, v26, -v65
	v_fma_f16 v53, v52, s2, v51
	v_sub_f16_e32 v54, v20, v21
	v_sub_f16_e32 v55, v48, v1
	;; [unrolled: 1-line block ×3, first 2 shown]
	v_fma_f16 v51, v52, s5, v51
	v_fma_f16 v53, v54, s3, v53
	v_add_f16_e32 v55, v55, v56
	v_fma_f16 v51, v54, s6, v51
	v_add_f16_e32 v35, v16, v48
	v_fma_f16 v53, v55, s4, v53
	v_fma_f16 v51, v55, s4, v51
	v_add_f16_e32 v55, v48, v33
	v_add_f16_e32 v35, v35, v1
	v_fma_f16 v16, v55, -0.5, v16
	v_add_f16_e32 v35, v35, v32
	v_fma_f16 v55, v54, s5, v16
	v_fma_f16 v16, v54, s2, v16
	v_add_f16_e32 v54, v20, v21
	v_add_f16_e32 v35, v35, v33
	v_sub_f16_e32 v56, v1, v48
	v_sub_f16_e32 v57, v32, v33
	v_fma_f16 v54, v54, -0.5, v5
	v_sub_f16_e32 v33, v48, v33
	v_fma_f16 v55, v52, s3, v55
	v_add_f16_e32 v56, v56, v57
	v_fma_f16 v16, v52, s6, v16
	v_fma_f16 v48, v33, s5, v54
	v_sub_f16_e32 v1, v1, v32
	v_fma_f16 v55, v56, s4, v55
	v_fma_f16 v16, v56, s4, v16
	v_fma_f16 v32, v1, s6, v48
	v_sub_f16_e32 v48, v19, v20
	v_sub_f16_e32 v56, v22, v21
	v_fma_f16 v54, v33, s2, v54
	v_add_f16_e32 v48, v48, v56
	v_fma_f16 v54, v1, s3, v54
	v_fma_f16 v32, v48, s4, v32
	;; [unrolled: 1-line block ×3, first 2 shown]
	v_add_f16_e32 v54, v19, v22
	v_add_f16_e32 v52, v5, v19
	v_fma_f16 v5, v54, -0.5, v5
	v_add_f16_e32 v52, v52, v20
	v_fma_f16 v54, v1, s2, v5
	v_sub_f16_e32 v19, v20, v19
	v_sub_f16_e32 v20, v21, v22
	v_fma_f16 v1, v1, s5, v5
	v_fma_f16 v54, v33, s6, v54
	v_add_f16_e32 v19, v19, v20
	v_fma_f16 v1, v33, s3, v1
	v_fma_f16 v20, v19, s4, v54
	v_fma_f16 v1, v19, s4, v1
	v_add_f16_e32 v19, v23, v45
	v_add_f16_e32 v52, v52, v21
	v_fma_f16 v19, v19, -0.5, v50
	v_sub_f16_e32 v21, v11, v26
	v_add_f16_e32 v52, v52, v22
	v_fma_f16 v22, v21, s2, v19
	v_sub_f16_e32 v33, v24, v25
	v_sub_f16_e32 v54, v17, v23
	v_sub_f16_e32 v56, v34, v45
	v_fma_f16 v19, v21, s5, v19
	v_fma_f16 v22, v33, s3, v22
	v_add_f16_e32 v54, v54, v56
	v_fma_f16 v19, v33, s6, v19
	v_fma_f16 v22, v54, s4, v22
	;; [unrolled: 1-line block ×3, first 2 shown]
	v_add_f16_e32 v54, v17, v34
	v_add_f16_e32 v5, v50, v17
	v_fma_f16 v50, v54, -0.5, v50
	v_add_f16_e32 v5, v5, v23
	v_fma_f16 v54, v33, s5, v50
	v_sub_f16_e32 v56, v23, v17
	v_sub_f16_e32 v57, v45, v34
	v_fma_f16 v33, v33, s2, v50
	v_add_f16_e32 v50, v24, v25
	v_add_f16_e32 v5, v5, v45
	v_fma_f16 v54, v21, s3, v54
	v_add_f16_e32 v56, v56, v57
	v_fma_f16 v21, v21, s6, v33
	v_fma_f16 v50, v50, -0.5, v8
	v_sub_f16_e32 v17, v17, v34
	v_add_f16_e32 v5, v5, v34
	v_fma_f16 v54, v56, s4, v54
	v_fma_f16 v21, v56, s4, v21
	;; [unrolled: 1-line block ×3, first 2 shown]
	v_sub_f16_e32 v23, v23, v45
	v_sub_f16_e32 v45, v11, v24
	;; [unrolled: 1-line block ×3, first 2 shown]
	v_fma_f16 v50, v17, s2, v50
	v_fma_f16 v34, v23, s6, v34
	v_add_f16_e32 v45, v45, v56
	v_fma_f16 v50, v23, s3, v50
	v_fma_f16 v34, v45, s4, v34
	;; [unrolled: 1-line block ×3, first 2 shown]
	v_add_f16_e32 v50, v11, v26
	v_add_f16_e32 v33, v8, v11
	v_fma_f16 v8, v50, -0.5, v8
	v_fma_f16 v50, v23, s2, v8
	v_fma_f16 v8, v23, s5, v8
	v_add_f16_e32 v33, v33, v24
	v_fma_f16 v50, v17, s6, v50
	v_sub_f16_e32 v11, v24, v11
	v_sub_f16_e32 v24, v25, v26
	v_fma_f16 v8, v17, s3, v8
	v_add_f16_e32 v17, v44, v31
	v_add_f16_e32 v33, v33, v25
	;; [unrolled: 1-line block ×3, first 2 shown]
	v_fma_f16 v17, v17, -0.5, v49
	v_sub_f16_e32 v23, v27, v30
	v_add_f16_e32 v33, v33, v26
	v_fma_f16 v24, v11, s4, v50
	v_fma_f16 v25, v23, s2, v17
	v_sub_f16_e32 v26, v28, v29
	v_sub_f16_e32 v50, v46, v44
	;; [unrolled: 1-line block ×3, first 2 shown]
	v_fma_f16 v17, v23, s5, v17
	v_fma_f16 v25, v26, s3, v25
	v_add_f16_e32 v50, v50, v56
	v_fma_f16 v17, v26, s6, v17
	v_fma_f16 v25, v50, s4, v25
	;; [unrolled: 1-line block ×3, first 2 shown]
	v_add_f16_e32 v50, v46, v47
	v_fma_f16 v8, v11, s4, v8
	v_add_f16_e32 v11, v49, v46
	v_fma_f16 v49, v50, -0.5, v49
	v_add_f16_e32 v11, v11, v44
	v_fma_f16 v50, v26, s5, v49
	v_fma_f16 v26, v26, s2, v49
	v_add_f16_e32 v49, v28, v29
	v_add_f16_e32 v11, v11, v31
	v_sub_f16_e32 v56, v44, v46
	v_sub_f16_e32 v57, v31, v47
	v_fma_f16 v49, v49, -0.5, v18
	v_sub_f16_e32 v46, v46, v47
	v_add_f16_e32 v11, v11, v47
	v_fma_f16 v50, v23, s3, v50
	v_add_f16_e32 v56, v56, v57
	v_fma_f16 v23, v23, s6, v26
	v_fma_f16 v47, v46, s5, v49
	v_sub_f16_e32 v31, v44, v31
	v_fma_f16 v50, v56, s4, v50
	v_fma_f16 v23, v56, s4, v23
	v_fma_f16 v44, v31, s6, v47
	v_sub_f16_e32 v47, v27, v28
	v_sub_f16_e32 v56, v30, v29
	v_fma_f16 v49, v46, s2, v49
	v_add_f16_e32 v47, v47, v56
	v_fma_f16 v49, v31, s3, v49
	v_fma_f16 v44, v47, s4, v44
	;; [unrolled: 1-line block ×3, first 2 shown]
	v_add_f16_e32 v49, v27, v30
	v_add_f16_e32 v26, v18, v27
	v_fma_f16 v18, v49, -0.5, v18
	v_add_f16_e32 v26, v26, v28
	v_fma_f16 v49, v31, s2, v18
	v_sub_f16_e32 v27, v28, v27
	v_sub_f16_e32 v28, v29, v30
	v_fma_f16 v18, v31, s5, v18
	v_fma_f16 v49, v46, s6, v49
	v_add_f16_e32 v27, v27, v28
	v_fma_f16 v18, v46, s3, v18
	v_pack_b32_f16 v1, v16, v1
	v_fma_f16 v28, v27, s4, v49
	v_fma_f16 v18, v27, s4, v18
	v_pack_b32_f16 v27, v35, v52
	ds_write_b32 v36, v1 offset:4032
	v_pack_b32_f16 v1, v51, v48
	ds_write_b32 v36, v27
	v_pack_b32_f16 v27, v53, v32
	v_pack_b32_f16 v20, v55, v20
	ds_write_b32 v36, v1 offset:5376
	v_pack_b32_f16 v1, v5, v33
	ds_write_b32 v36, v27 offset:1344
	ds_write_b32 v36, v20 offset:2688
	ds_write_b32 v43, v1
	v_pack_b32_f16 v1, v22, v34
	ds_write_b32 v43, v1 offset:1344
	v_pack_b32_f16 v1, v54, v24
	v_add_f16_e32 v26, v26, v29
	ds_write_b32 v43, v1 offset:2688
	v_pack_b32_f16 v1, v21, v8
	v_add_f16_e32 v26, v26, v30
	ds_write_b32 v43, v1 offset:4032
	v_pack_b32_f16 v1, v19, v45
	ds_write_b32 v43, v1 offset:5376
	v_pack_b32_f16 v1, v11, v26
	ds_write_b32 v42, v1
	v_pack_b32_f16 v1, v25, v44
	ds_write_b32 v42, v1 offset:1344
	v_pack_b32_f16 v1, v50, v28
	ds_write_b32 v42, v1 offset:2688
	;; [unrolled: 2-line block ×4, first 2 shown]
	s_waitcnt lgkmcnt(0)
	s_barrier
	ds_read_b32 v5, v36
	s_add_u32 s6, s8, 0x1a38
	s_addc_u32 s7, s9, 0
	v_sub_u32_e32 v16, 0, v14
	v_cmp_ne_u32_e64 s[2:3], 0, v0
                                        ; implicit-def: $vgpr8
                                        ; implicit-def: $vgpr1
                                        ; implicit-def: $vgpr11
	s_and_saveexec_b64 s[4:5], s[2:3]
	s_xor_b64 s[4:5], exec, s[4:5]
	s_cbranch_execz .LBB0_33
; %bb.32:
	v_mov_b32_e32 v1, v15
	v_lshlrev_b64 v[14:15], 2, v[0:1]
	v_mov_b32_e32 v1, s7
	v_add_co_u32_e64 v14, s[2:3], s6, v14
	v_addc_co_u32_e64 v15, s[2:3], v1, v15, s[2:3]
	global_load_dword v8, v[14:15], off
	ds_read_b32 v1, v16 offset:6720
	s_waitcnt lgkmcnt(0)
	v_add_f16_sdwa v11, v1, v5 dst_sel:DWORD dst_unused:UNUSED_PAD src0_sel:WORD_1 src1_sel:WORD_1
	v_sub_f16_e32 v15, v5, v1
	v_add_f16_e32 v14, v1, v5
	v_sub_f16_sdwa v1, v5, v1 dst_sel:DWORD dst_unused:UNUSED_PAD src0_sel:WORD_1 src1_sel:WORD_1
	v_mul_f16_e32 v5, 0.5, v11
	v_mul_f16_e32 v15, 0.5, v15
	;; [unrolled: 1-line block ×3, first 2 shown]
	s_waitcnt vmcnt(0)
	v_lshrrev_b32_e32 v11, 16, v8
	v_mul_f16_e32 v17, v11, v15
	v_fma_f16 v18, v5, v11, v1
	v_fma_f16 v19, v5, v11, -v1
	v_fma_f16 v1, v14, 0.5, v17
	v_fma_f16 v14, v14, 0.5, -v17
	v_fma_f16 v17, v8, v5, v1
	v_fma_f16 v11, -v8, v15, v18
	v_fma_f16 v1, -v8, v5, v14
	ds_write_b16 v36, v17
	v_fma_f16 v8, -v8, v15, v19
                                        ; implicit-def: $vgpr5
.LBB0_33:
	s_andn2_saveexec_b64 s[2:3], s[4:5]
	s_cbranch_execz .LBB0_35
; %bb.34:
	v_mov_b32_e32 v11, 0
	ds_read_u16 v8, v11 offset:3362
	s_waitcnt lgkmcnt(1)
	v_add_f16_sdwa v14, v5, v5 dst_sel:DWORD dst_unused:UNUSED_PAD src0_sel:WORD_1 src1_sel:DWORD
	v_sub_f16_sdwa v1, v5, v5 dst_sel:DWORD dst_unused:UNUSED_PAD src0_sel:DWORD src1_sel:WORD_1
	ds_write_b16 v36, v14
	s_waitcnt lgkmcnt(1)
	v_xor_b32_e32 v5, 0x8000, v8
	v_mov_b32_e32 v8, 0
	ds_write_b16 v11, v5 offset:3362
.LBB0_35:
	s_or_b64 exec, exec, s[2:3]
	s_waitcnt lgkmcnt(0)
	v_mov_b32_e32 v5, 0
	v_lshlrev_b64 v[14:15], 2, v[4:5]
	v_mov_b32_e32 v4, s7
	v_add_co_u32_e64 v14, s[2:3], s6, v14
	v_addc_co_u32_e64 v15, s[2:3], v4, v15, s[2:3]
	global_load_dword v4, v[14:15], off
	v_mov_b32_e32 v14, v5
	v_lshlrev_b64 v[13:14], 2, v[13:14]
	v_mov_b32_e32 v15, s7
	v_add_co_u32_e64 v13, s[2:3], s6, v13
	v_addc_co_u32_e64 v14, s[2:3], v15, v14, s[2:3]
	global_load_dword v14, v[13:14], off
	ds_write_b16 v36, v11 offset:2
	v_mov_b32_e32 v11, v5
	v_lshlrev_b64 v[10:11], 2, v[10:11]
	v_mov_b32_e32 v13, s7
	v_add_co_u32_e64 v10, s[2:3], s6, v10
	v_addc_co_u32_e64 v11, s[2:3], v13, v11, s[2:3]
	global_load_dword v19, v[10:11], off
	s_mov_b32 s5, 0x5040100
	v_perm_b32 v1, v8, v1, s5
	v_mov_b32_e32 v8, v5
	v_lshlrev_b64 v[7:8], 2, v[7:8]
	v_mov_b32_e32 v10, v5
	v_lshlrev_b64 v[9:10], 2, v[9:10]
	v_add_co_u32_e64 v7, s[2:3], s6, v7
	v_mov_b32_e32 v13, v5
	v_addc_co_u32_e64 v8, s[2:3], v15, v8, s[2:3]
	v_mov_b32_e32 v17, s7
	v_lshlrev_b64 v[11:12], 2, v[12:13]
	v_add_co_u32_e64 v9, s[2:3], s6, v9
	v_addc_co_u32_e64 v10, s[2:3], v17, v10, s[2:3]
	v_mov_b32_e32 v18, s7
	ds_write_b32 v16, v1 offset:6720
	v_add_co_u32_e64 v11, s[2:3], s6, v11
	ds_read_b32 v1, v43
	ds_read_b32 v13, v16 offset:6272
	v_addc_co_u32_e64 v12, s[2:3], v18, v12, s[2:3]
	global_load_dword v15, v[7:8], off
	global_load_dword v17, v[9:10], off
	global_load_dword v18, v[11:12], off
	s_mov_b32 s4, 0xffff
	s_waitcnt lgkmcnt(0)
	v_pk_add_f16 v7, v1, v13 neg_lo:[0,1] neg_hi:[0,1]
	v_pk_add_f16 v1, v1, v13
	v_bfi_b32 v8, s4, v7, v1
	v_bfi_b32 v1, s4, v1, v7
	v_pk_mul_f16 v7, v8, 0.5 op_sel_hi:[1,0]
	v_pk_mul_f16 v1, v1, 0.5 op_sel_hi:[1,0]
	s_waitcnt vmcnt(5)
	v_pk_fma_f16 v8, v4, v7, v1 op_sel:[1,0,0]
	v_pk_mul_f16 v9, v4, v7 op_sel_hi:[0,1]
	v_pk_fma_f16 v10, v4, v7, v1 op_sel:[1,0,0] neg_lo:[1,0,0] neg_hi:[1,0,0]
	v_pk_fma_f16 v1, v4, v7, v1 op_sel:[1,0,0] neg_lo:[0,0,1] neg_hi:[0,0,1]
	v_pk_add_f16 v4, v8, v9 op_sel:[0,1] op_sel_hi:[1,0]
	v_pk_add_f16 v7, v8, v9 op_sel:[0,1] op_sel_hi:[1,0] neg_lo:[0,1] neg_hi:[0,1]
	v_pk_add_f16 v8, v10, v9 op_sel:[0,1] op_sel_hi:[1,0] neg_lo:[0,1] neg_hi:[0,1]
	v_pk_add_f16 v1, v1, v9 op_sel:[0,1] op_sel_hi:[1,0] neg_lo:[0,1] neg_hi:[0,1]
	v_bfi_b32 v4, s4, v4, v7
	v_bfi_b32 v1, s4, v8, v1
	ds_write_b32 v43, v4
	ds_write_b32 v16, v1 offset:6272
	ds_read_b32 v1, v42
	ds_read_b32 v4, v16 offset:5824
	s_waitcnt lgkmcnt(0)
	v_pk_add_f16 v7, v1, v4 neg_lo:[0,1] neg_hi:[0,1]
	v_pk_add_f16 v1, v1, v4
	v_bfi_b32 v4, s4, v7, v1
	v_bfi_b32 v1, s4, v1, v7
	v_pk_mul_f16 v4, v4, 0.5 op_sel_hi:[1,0]
	v_pk_mul_f16 v1, v1, 0.5 op_sel_hi:[1,0]
	s_waitcnt vmcnt(4)
	v_pk_fma_f16 v7, v14, v4, v1 op_sel:[1,0,0]
	v_pk_mul_f16 v8, v14, v4 op_sel_hi:[0,1]
	v_pk_fma_f16 v9, v14, v4, v1 op_sel:[1,0,0] neg_lo:[1,0,0] neg_hi:[1,0,0]
	v_pk_fma_f16 v1, v14, v4, v1 op_sel:[1,0,0] neg_lo:[0,0,1] neg_hi:[0,0,1]
	v_pk_add_f16 v4, v7, v8 op_sel:[0,1] op_sel_hi:[1,0]
	v_pk_add_f16 v7, v7, v8 op_sel:[0,1] op_sel_hi:[1,0] neg_lo:[0,1] neg_hi:[0,1]
	v_pk_add_f16 v9, v9, v8 op_sel:[0,1] op_sel_hi:[1,0] neg_lo:[0,1] neg_hi:[0,1]
	v_pk_add_f16 v1, v1, v8 op_sel:[0,1] op_sel_hi:[1,0] neg_lo:[0,1] neg_hi:[0,1]
	v_bfi_b32 v4, s4, v4, v7
	v_bfi_b32 v1, s4, v9, v1
	ds_write_b32 v42, v4
	ds_write_b32 v16, v1 offset:5824
	ds_read_b32 v1, v41
	ds_read_b32 v4, v16 offset:5376
	;; [unrolled: 22-line block ×3, first 2 shown]
	s_waitcnt lgkmcnt(0)
	v_pk_add_f16 v7, v1, v4 neg_lo:[0,1] neg_hi:[0,1]
	v_pk_add_f16 v1, v1, v4
	v_bfi_b32 v4, s4, v7, v1
	v_bfi_b32 v1, s4, v1, v7
	v_pk_mul_f16 v4, v4, 0.5 op_sel_hi:[1,0]
	v_pk_mul_f16 v1, v1, 0.5 op_sel_hi:[1,0]
	s_waitcnt vmcnt(2)
	v_pk_fma_f16 v7, v15, v4, v1 op_sel:[1,0,0]
	v_pk_mul_f16 v8, v15, v4 op_sel_hi:[0,1]
	v_pk_add_f16 v9, v7, v8 op_sel:[0,1] op_sel_hi:[1,0]
	v_pk_add_f16 v7, v7, v8 op_sel:[0,1] op_sel_hi:[1,0] neg_lo:[0,1] neg_hi:[0,1]
	v_bfi_b32 v7, s4, v9, v7
	ds_write_b32 v40, v7
	v_pk_fma_f16 v7, v15, v4, v1 op_sel:[1,0,0] neg_lo:[1,0,0] neg_hi:[1,0,0]
	v_pk_fma_f16 v1, v15, v4, v1 op_sel:[1,0,0] neg_lo:[0,0,1] neg_hi:[0,0,1]
	v_pk_add_f16 v7, v7, v8 op_sel:[0,1] op_sel_hi:[1,0] neg_lo:[0,1] neg_hi:[0,1]
	v_pk_add_f16 v1, v1, v8 op_sel:[0,1] op_sel_hi:[1,0] neg_lo:[0,1] neg_hi:[0,1]
	v_bfi_b32 v1, s4, v7, v1
	ds_write_b32 v16, v1 offset:4928
	ds_read_b32 v1, v39
	ds_read_b32 v4, v16 offset:4480
	s_waitcnt lgkmcnt(0)
	v_pk_add_f16 v7, v1, v4 neg_lo:[0,1] neg_hi:[0,1]
	v_pk_add_f16 v1, v1, v4
	v_bfi_b32 v4, s4, v7, v1
	v_bfi_b32 v1, s4, v1, v7
	v_pk_mul_f16 v4, v4, 0.5 op_sel_hi:[1,0]
	v_pk_mul_f16 v1, v1, 0.5 op_sel_hi:[1,0]
	s_waitcnt vmcnt(1)
	v_pk_fma_f16 v7, v17, v4, v1 op_sel:[1,0,0]
	v_pk_mul_f16 v8, v17, v4 op_sel_hi:[0,1]
	v_pk_add_f16 v9, v7, v8 op_sel:[0,1] op_sel_hi:[1,0]
	v_pk_add_f16 v7, v7, v8 op_sel:[0,1] op_sel_hi:[1,0] neg_lo:[0,1] neg_hi:[0,1]
	v_bfi_b32 v7, s4, v9, v7
	ds_write_b32 v39, v7
	v_pk_fma_f16 v7, v17, v4, v1 op_sel:[1,0,0] neg_lo:[1,0,0] neg_hi:[1,0,0]
	v_pk_fma_f16 v1, v17, v4, v1 op_sel:[1,0,0] neg_lo:[0,0,1] neg_hi:[0,0,1]
	v_pk_add_f16 v7, v7, v8 op_sel:[0,1] op_sel_hi:[1,0] neg_lo:[0,1] neg_hi:[0,1]
	v_pk_add_f16 v1, v1, v8 op_sel:[0,1] op_sel_hi:[1,0] neg_lo:[0,1] neg_hi:[0,1]
	v_bfi_b32 v1, s4, v7, v1
	ds_write_b32 v16, v1 offset:4480
	ds_read_b32 v1, v38
	ds_read_b32 v4, v16 offset:4032
	s_waitcnt lgkmcnt(0)
	v_pk_add_f16 v7, v1, v4 neg_lo:[0,1] neg_hi:[0,1]
	v_pk_add_f16 v1, v1, v4
	v_bfi_b32 v4, s4, v7, v1
	v_bfi_b32 v1, s4, v1, v7
	v_pk_mul_f16 v4, v4, 0.5 op_sel_hi:[1,0]
	v_pk_mul_f16 v1, v1, 0.5 op_sel_hi:[1,0]
	s_waitcnt vmcnt(0)
	v_pk_fma_f16 v7, v18, v4, v1 op_sel:[1,0,0]
	v_pk_mul_f16 v8, v18, v4 op_sel_hi:[0,1]
	v_pk_add_f16 v9, v7, v8 op_sel:[0,1] op_sel_hi:[1,0]
	v_pk_add_f16 v7, v7, v8 op_sel:[0,1] op_sel_hi:[1,0] neg_lo:[0,1] neg_hi:[0,1]
	v_bfi_b32 v7, s4, v9, v7
	ds_write_b32 v38, v7
	v_pk_fma_f16 v7, v18, v4, v1 op_sel:[1,0,0] neg_lo:[1,0,0] neg_hi:[1,0,0]
	v_pk_fma_f16 v1, v18, v4, v1 op_sel:[1,0,0] neg_lo:[0,0,1] neg_hi:[0,0,1]
	v_pk_add_f16 v7, v7, v8 op_sel:[0,1] op_sel_hi:[1,0] neg_lo:[0,1] neg_hi:[0,1]
	v_pk_add_f16 v1, v1, v8 op_sel:[0,1] op_sel_hi:[1,0] neg_lo:[0,1] neg_hi:[0,1]
	v_bfi_b32 v1, s4, v7, v1
	ds_write_b32 v16, v1 offset:4032
	s_and_saveexec_b64 s[2:3], vcc
	s_cbranch_execz .LBB0_37
; %bb.36:
	v_mov_b32_e32 v7, v5
	v_lshlrev_b64 v[4:5], 2, v[6:7]
	v_mov_b32_e32 v1, s7
	v_add_co_u32_e32 v4, vcc, s6, v4
	v_addc_co_u32_e32 v5, vcc, v1, v5, vcc
	global_load_dword v1, v[4:5], off
	ds_read_b32 v4, v37
	ds_read_b32 v5, v16 offset:3584
	s_waitcnt lgkmcnt(0)
	v_pk_add_f16 v6, v4, v5 neg_lo:[0,1] neg_hi:[0,1]
	v_pk_add_f16 v4, v4, v5
	v_bfi_b32 v5, s4, v6, v4
	v_bfi_b32 v4, s4, v4, v6
	v_pk_mul_f16 v5, v5, 0.5 op_sel_hi:[1,0]
	v_pk_mul_f16 v4, v4, 0.5 op_sel_hi:[1,0]
	s_waitcnt vmcnt(0)
	v_pk_fma_f16 v6, v1, v5, v4 op_sel:[1,0,0]
	v_pk_mul_f16 v7, v1, v5 op_sel_hi:[0,1]
	v_pk_fma_f16 v8, v1, v5, v4 op_sel:[1,0,0] neg_lo:[1,0,0] neg_hi:[1,0,0]
	v_pk_fma_f16 v1, v1, v5, v4 op_sel:[1,0,0] neg_lo:[0,0,1] neg_hi:[0,0,1]
	v_pk_add_f16 v4, v6, v7 op_sel:[0,1] op_sel_hi:[1,0]
	v_pk_add_f16 v5, v6, v7 op_sel:[0,1] op_sel_hi:[1,0] neg_lo:[0,1] neg_hi:[0,1]
	v_pk_add_f16 v6, v8, v7 op_sel:[0,1] op_sel_hi:[1,0] neg_lo:[0,1] neg_hi:[0,1]
	;; [unrolled: 1-line block ×3, first 2 shown]
	v_bfi_b32 v4, s4, v4, v5
	v_bfi_b32 v1, s4, v6, v1
	ds_write_b32 v37, v4
	ds_write_b32 v16, v1 offset:3584
.LBB0_37:
	s_or_b64 exec, exec, s[2:3]
	s_waitcnt lgkmcnt(0)
	s_barrier
	s_and_saveexec_b64 s[2:3], s[0:1]
	s_cbranch_execz .LBB0_40
; %bb.38:
	v_mov_b32_e32 v1, 0
	ds_read2_b32 v[5:6], v36 offset1:112
	v_mov_b32_e32 v7, s13
	v_add_co_u32_e32 v4, vcc, s12, v2
	v_addc_co_u32_e32 v2, vcc, v7, v3, vcc
	v_lshlrev_b64 v[7:8], 2, v[0:1]
	v_add_u32_e32 v3, 0x200, v36
	ds_read2_b32 v[9:10], v3 offset0:96 offset1:208
	v_add_co_u32_e32 v7, vcc, v4, v7
	v_addc_co_u32_e32 v8, vcc, v2, v8, vcc
	s_waitcnt lgkmcnt(1)
	global_store_dword v[7:8], v5, off
	global_store_dword v[7:8], v6, off offset:448
	s_waitcnt lgkmcnt(0)
	global_store_dword v[7:8], v9, off offset:896
	global_store_dword v[7:8], v10, off offset:1344
	v_add_u32_e32 v3, 0x600, v36
	ds_read2_b32 v[5:6], v3 offset0:64 offset1:176
	v_add_u32_e32 v3, 0xa00, v36
	ds_read2_b32 v[9:10], v3 offset0:32 offset1:144
	;; [unrolled: 2-line block ×3, first 2 shown]
	s_waitcnt lgkmcnt(2)
	global_store_dword v[7:8], v5, off offset:1792
	global_store_dword v[7:8], v6, off offset:2240
	s_waitcnt lgkmcnt(1)
	global_store_dword v[7:8], v9, off offset:2688
	global_store_dword v[7:8], v10, off offset:3136
	s_waitcnt lgkmcnt(0)
	global_store_dword v[7:8], v11, off offset:3584
	global_store_dword v[7:8], v12, off offset:4032
	v_add_u32_e32 v3, 0x1000, v36
	ds_read2_b32 v[5:6], v3 offset0:96 offset1:208
	s_movk_i32 s0, 0x1000
	v_add_u32_e32 v3, 0x1400, v36
	ds_read2_b32 v[9:10], v3 offset0:64 offset1:176
	v_add_co_u32_e32 v7, vcc, s0, v7
	v_addc_co_u32_e32 v8, vcc, 0, v8, vcc
	s_movk_i32 s0, 0x6f
	ds_read_b32 v3, v36 offset:6272
	v_cmp_eq_u32_e32 vcc, s0, v0
	s_waitcnt lgkmcnt(2)
	global_store_dword v[7:8], v5, off offset:384
	global_store_dword v[7:8], v6, off offset:832
	s_waitcnt lgkmcnt(1)
	global_store_dword v[7:8], v9, off offset:1280
	global_store_dword v[7:8], v10, off offset:1728
	s_waitcnt lgkmcnt(0)
	global_store_dword v[7:8], v3, off offset:2176
	s_and_b64 exec, exec, vcc
	s_cbranch_execz .LBB0_40
; %bb.39:
	ds_read_b32 v3, v1 offset:6720
	v_add_co_u32_e32 v0, vcc, 0x1000, v4
	v_addc_co_u32_e32 v1, vcc, 0, v2, vcc
	s_waitcnt lgkmcnt(0)
	global_store_dword v[0:1], v3, off offset:2624
.LBB0_40:
	s_endpgm
	.section	.rodata,"a",@progbits
	.p2align	6, 0x0
	.amdhsa_kernel fft_rtc_back_len1680_factors_2_2_2_2_3_7_5_wgs_112_tpt_112_halfLds_half_ip_CI_unitstride_sbrr_R2C_dirReg
		.amdhsa_group_segment_fixed_size 0
		.amdhsa_private_segment_fixed_size 0
		.amdhsa_kernarg_size 88
		.amdhsa_user_sgpr_count 6
		.amdhsa_user_sgpr_private_segment_buffer 1
		.amdhsa_user_sgpr_dispatch_ptr 0
		.amdhsa_user_sgpr_queue_ptr 0
		.amdhsa_user_sgpr_kernarg_segment_ptr 1
		.amdhsa_user_sgpr_dispatch_id 0
		.amdhsa_user_sgpr_flat_scratch_init 0
		.amdhsa_user_sgpr_private_segment_size 0
		.amdhsa_uses_dynamic_stack 0
		.amdhsa_system_sgpr_private_segment_wavefront_offset 0
		.amdhsa_system_sgpr_workgroup_id_x 1
		.amdhsa_system_sgpr_workgroup_id_y 0
		.amdhsa_system_sgpr_workgroup_id_z 0
		.amdhsa_system_sgpr_workgroup_info 0
		.amdhsa_system_vgpr_workitem_id 0
		.amdhsa_next_free_vgpr 76
		.amdhsa_next_free_sgpr 22
		.amdhsa_reserve_vcc 1
		.amdhsa_reserve_flat_scratch 0
		.amdhsa_float_round_mode_32 0
		.amdhsa_float_round_mode_16_64 0
		.amdhsa_float_denorm_mode_32 3
		.amdhsa_float_denorm_mode_16_64 3
		.amdhsa_dx10_clamp 1
		.amdhsa_ieee_mode 1
		.amdhsa_fp16_overflow 0
		.amdhsa_exception_fp_ieee_invalid_op 0
		.amdhsa_exception_fp_denorm_src 0
		.amdhsa_exception_fp_ieee_div_zero 0
		.amdhsa_exception_fp_ieee_overflow 0
		.amdhsa_exception_fp_ieee_underflow 0
		.amdhsa_exception_fp_ieee_inexact 0
		.amdhsa_exception_int_div_zero 0
	.end_amdhsa_kernel
	.text
.Lfunc_end0:
	.size	fft_rtc_back_len1680_factors_2_2_2_2_3_7_5_wgs_112_tpt_112_halfLds_half_ip_CI_unitstride_sbrr_R2C_dirReg, .Lfunc_end0-fft_rtc_back_len1680_factors_2_2_2_2_3_7_5_wgs_112_tpt_112_halfLds_half_ip_CI_unitstride_sbrr_R2C_dirReg
                                        ; -- End function
	.section	.AMDGPU.csdata,"",@progbits
; Kernel info:
; codeLenInByte = 12808
; NumSgprs: 26
; NumVgprs: 76
; ScratchSize: 0
; MemoryBound: 0
; FloatMode: 240
; IeeeMode: 1
; LDSByteSize: 0 bytes/workgroup (compile time only)
; SGPRBlocks: 3
; VGPRBlocks: 18
; NumSGPRsForWavesPerEU: 26
; NumVGPRsForWavesPerEU: 76
; Occupancy: 3
; WaveLimiterHint : 1
; COMPUTE_PGM_RSRC2:SCRATCH_EN: 0
; COMPUTE_PGM_RSRC2:USER_SGPR: 6
; COMPUTE_PGM_RSRC2:TRAP_HANDLER: 0
; COMPUTE_PGM_RSRC2:TGID_X_EN: 1
; COMPUTE_PGM_RSRC2:TGID_Y_EN: 0
; COMPUTE_PGM_RSRC2:TGID_Z_EN: 0
; COMPUTE_PGM_RSRC2:TIDIG_COMP_CNT: 0
	.type	__hip_cuid_3faaf20fb7659591,@object ; @__hip_cuid_3faaf20fb7659591
	.section	.bss,"aw",@nobits
	.globl	__hip_cuid_3faaf20fb7659591
__hip_cuid_3faaf20fb7659591:
	.byte	0                               ; 0x0
	.size	__hip_cuid_3faaf20fb7659591, 1

	.ident	"AMD clang version 19.0.0git (https://github.com/RadeonOpenCompute/llvm-project roc-6.4.0 25133 c7fe45cf4b819c5991fe208aaa96edf142730f1d)"
	.section	".note.GNU-stack","",@progbits
	.addrsig
	.addrsig_sym __hip_cuid_3faaf20fb7659591
	.amdgpu_metadata
---
amdhsa.kernels:
  - .args:
      - .actual_access:  read_only
        .address_space:  global
        .offset:         0
        .size:           8
        .value_kind:     global_buffer
      - .offset:         8
        .size:           8
        .value_kind:     by_value
      - .actual_access:  read_only
        .address_space:  global
        .offset:         16
        .size:           8
        .value_kind:     global_buffer
      - .actual_access:  read_only
        .address_space:  global
        .offset:         24
        .size:           8
        .value_kind:     global_buffer
      - .offset:         32
        .size:           8
        .value_kind:     by_value
      - .actual_access:  read_only
        .address_space:  global
        .offset:         40
        .size:           8
        .value_kind:     global_buffer
      - .actual_access:  read_only
        .address_space:  global
        .offset:         48
        .size:           8
        .value_kind:     global_buffer
      - .offset:         56
        .size:           4
        .value_kind:     by_value
      - .actual_access:  read_only
        .address_space:  global
        .offset:         64
        .size:           8
        .value_kind:     global_buffer
      - .actual_access:  read_only
        .address_space:  global
        .offset:         72
        .size:           8
        .value_kind:     global_buffer
      - .address_space:  global
        .offset:         80
        .size:           8
        .value_kind:     global_buffer
    .group_segment_fixed_size: 0
    .kernarg_segment_align: 8
    .kernarg_segment_size: 88
    .language:       OpenCL C
    .language_version:
      - 2
      - 0
    .max_flat_workgroup_size: 112
    .name:           fft_rtc_back_len1680_factors_2_2_2_2_3_7_5_wgs_112_tpt_112_halfLds_half_ip_CI_unitstride_sbrr_R2C_dirReg
    .private_segment_fixed_size: 0
    .sgpr_count:     26
    .sgpr_spill_count: 0
    .symbol:         fft_rtc_back_len1680_factors_2_2_2_2_3_7_5_wgs_112_tpt_112_halfLds_half_ip_CI_unitstride_sbrr_R2C_dirReg.kd
    .uniform_work_group_size: 1
    .uses_dynamic_stack: false
    .vgpr_count:     76
    .vgpr_spill_count: 0
    .wavefront_size: 64
amdhsa.target:   amdgcn-amd-amdhsa--gfx906
amdhsa.version:
  - 1
  - 2
...

	.end_amdgpu_metadata
